;; amdgpu-corpus repo=ROCm/hipCUB kind=compiled arch=gfx1250 opt=O3
	.amdgcn_target "amdgcn-amd-amdhsa--gfx1250"
	.amdhsa_code_object_version 6
	.section	.text._Z18vector_test_kernelI15HIP_vector_typeIhLj1EELj1ELj16EEvPT_S3_,"axG",@progbits,_Z18vector_test_kernelI15HIP_vector_typeIhLj1EELj1ELj16EEvPT_S3_,comdat
	.protected	_Z18vector_test_kernelI15HIP_vector_typeIhLj1EELj1ELj16EEvPT_S3_ ; -- Begin function _Z18vector_test_kernelI15HIP_vector_typeIhLj1EELj1ELj16EEvPT_S3_
	.globl	_Z18vector_test_kernelI15HIP_vector_typeIhLj1EELj1ELj16EEvPT_S3_
	.p2align	8
	.type	_Z18vector_test_kernelI15HIP_vector_typeIhLj1EELj1ELj16EEvPT_S3_,@function
_Z18vector_test_kernelI15HIP_vector_typeIhLj1EELj1ELj16EEvPT_S3_: ; @_Z18vector_test_kernelI15HIP_vector_typeIhLj1EELj1ELj16EEvPT_S3_
; %bb.0:
	s_load_b64 s[0:1], s[0:1], 0x8
	s_bfe_u32 s2, ttmp6, 0x4000c
	s_and_b32 s3, ttmp6, 15
	s_add_co_i32 s2, s2, 1
	s_getreg_b32 s4, hwreg(HW_REG_IB_STS2, 6, 4)
	s_mul_i32 s2, ttmp9, s2
	v_mov_b32_e32 v1, 0
	s_add_co_i32 s3, s3, s2
	s_cmp_eq_u32 s4, 0
	s_cselect_b32 s2, ttmp9, s3
	s_delay_alu instid0(SALU_CYCLE_1)
	v_lshl_add_u32 v0, s2, 4, v0
	s_wait_kmcnt 0x0
	global_store_b8 v0, v1, s[0:1]
	s_endpgm
	.section	.rodata,"a",@progbits
	.p2align	6, 0x0
	.amdhsa_kernel _Z18vector_test_kernelI15HIP_vector_typeIhLj1EELj1ELj16EEvPT_S3_
		.amdhsa_group_segment_fixed_size 0
		.amdhsa_private_segment_fixed_size 0
		.amdhsa_kernarg_size 16
		.amdhsa_user_sgpr_count 2
		.amdhsa_user_sgpr_dispatch_ptr 0
		.amdhsa_user_sgpr_queue_ptr 0
		.amdhsa_user_sgpr_kernarg_segment_ptr 1
		.amdhsa_user_sgpr_dispatch_id 0
		.amdhsa_user_sgpr_kernarg_preload_length 0
		.amdhsa_user_sgpr_kernarg_preload_offset 0
		.amdhsa_user_sgpr_private_segment_size 0
		.amdhsa_wavefront_size32 1
		.amdhsa_uses_dynamic_stack 0
		.amdhsa_enable_private_segment 0
		.amdhsa_system_sgpr_workgroup_id_x 1
		.amdhsa_system_sgpr_workgroup_id_y 0
		.amdhsa_system_sgpr_workgroup_id_z 0
		.amdhsa_system_sgpr_workgroup_info 0
		.amdhsa_system_vgpr_workitem_id 0
		.amdhsa_next_free_vgpr 2
		.amdhsa_next_free_sgpr 5
		.amdhsa_named_barrier_count 0
		.amdhsa_reserve_vcc 0
		.amdhsa_float_round_mode_32 0
		.amdhsa_float_round_mode_16_64 0
		.amdhsa_float_denorm_mode_32 3
		.amdhsa_float_denorm_mode_16_64 3
		.amdhsa_fp16_overflow 0
		.amdhsa_memory_ordered 1
		.amdhsa_forward_progress 1
		.amdhsa_inst_pref_size 1
		.amdhsa_round_robin_scheduling 0
		.amdhsa_exception_fp_ieee_invalid_op 0
		.amdhsa_exception_fp_denorm_src 0
		.amdhsa_exception_fp_ieee_div_zero 0
		.amdhsa_exception_fp_ieee_overflow 0
		.amdhsa_exception_fp_ieee_underflow 0
		.amdhsa_exception_fp_ieee_inexact 0
		.amdhsa_exception_int_div_zero 0
	.end_amdhsa_kernel
	.section	.text._Z18vector_test_kernelI15HIP_vector_typeIhLj1EELj1ELj16EEvPT_S3_,"axG",@progbits,_Z18vector_test_kernelI15HIP_vector_typeIhLj1EELj1ELj16EEvPT_S3_,comdat
.Lfunc_end0:
	.size	_Z18vector_test_kernelI15HIP_vector_typeIhLj1EELj1ELj16EEvPT_S3_, .Lfunc_end0-_Z18vector_test_kernelI15HIP_vector_typeIhLj1EELj1ELj16EEvPT_S3_
                                        ; -- End function
	.set _Z18vector_test_kernelI15HIP_vector_typeIhLj1EELj1ELj16EEvPT_S3_.num_vgpr, 2
	.set _Z18vector_test_kernelI15HIP_vector_typeIhLj1EELj1ELj16EEvPT_S3_.num_agpr, 0
	.set _Z18vector_test_kernelI15HIP_vector_typeIhLj1EELj1ELj16EEvPT_S3_.numbered_sgpr, 5
	.set _Z18vector_test_kernelI15HIP_vector_typeIhLj1EELj1ELj16EEvPT_S3_.num_named_barrier, 0
	.set _Z18vector_test_kernelI15HIP_vector_typeIhLj1EELj1ELj16EEvPT_S3_.private_seg_size, 0
	.set _Z18vector_test_kernelI15HIP_vector_typeIhLj1EELj1ELj16EEvPT_S3_.uses_vcc, 0
	.set _Z18vector_test_kernelI15HIP_vector_typeIhLj1EELj1ELj16EEvPT_S3_.uses_flat_scratch, 0
	.set _Z18vector_test_kernelI15HIP_vector_typeIhLj1EELj1ELj16EEvPT_S3_.has_dyn_sized_stack, 0
	.set _Z18vector_test_kernelI15HIP_vector_typeIhLj1EELj1ELj16EEvPT_S3_.has_recursion, 0
	.set _Z18vector_test_kernelI15HIP_vector_typeIhLj1EELj1ELj16EEvPT_S3_.has_indirect_call, 0
	.section	.AMDGPU.csdata,"",@progbits
; Kernel info:
; codeLenInByte = 80
; TotalNumSgprs: 5
; NumVgprs: 2
; ScratchSize: 0
; MemoryBound: 0
; FloatMode: 240
; IeeeMode: 1
; LDSByteSize: 0 bytes/workgroup (compile time only)
; SGPRBlocks: 0
; VGPRBlocks: 0
; NumSGPRsForWavesPerEU: 5
; NumVGPRsForWavesPerEU: 2
; NamedBarCnt: 0
; Occupancy: 16
; WaveLimiterHint : 0
; COMPUTE_PGM_RSRC2:SCRATCH_EN: 0
; COMPUTE_PGM_RSRC2:USER_SGPR: 2
; COMPUTE_PGM_RSRC2:TRAP_HANDLER: 0
; COMPUTE_PGM_RSRC2:TGID_X_EN: 1
; COMPUTE_PGM_RSRC2:TGID_Y_EN: 0
; COMPUTE_PGM_RSRC2:TGID_Z_EN: 0
; COMPUTE_PGM_RSRC2:TIDIG_COMP_CNT: 0
	.section	.text._Z18vector_test_kernelI15HIP_vector_typeIdLj1EELj1ELj16EEvPT_S3_,"axG",@progbits,_Z18vector_test_kernelI15HIP_vector_typeIdLj1EELj1ELj16EEvPT_S3_,comdat
	.protected	_Z18vector_test_kernelI15HIP_vector_typeIdLj1EELj1ELj16EEvPT_S3_ ; -- Begin function _Z18vector_test_kernelI15HIP_vector_typeIdLj1EELj1ELj16EEvPT_S3_
	.globl	_Z18vector_test_kernelI15HIP_vector_typeIdLj1EELj1ELj16EEvPT_S3_
	.p2align	8
	.type	_Z18vector_test_kernelI15HIP_vector_typeIdLj1EELj1ELj16EEvPT_S3_,@function
_Z18vector_test_kernelI15HIP_vector_typeIdLj1EELj1ELj16EEvPT_S3_: ; @_Z18vector_test_kernelI15HIP_vector_typeIdLj1EELj1ELj16EEvPT_S3_
; %bb.0:
	s_load_b128 s[0:3], s[0:1], 0x0
	s_bfe_u32 s4, ttmp6, 0x4000c
	s_and_b32 s5, ttmp6, 15
	s_add_co_i32 s4, s4, 1
	s_getreg_b32 s6, hwreg(HW_REG_IB_STS2, 6, 4)
	s_mul_i32 s4, ttmp9, s4
	s_delay_alu instid0(SALU_CYCLE_1) | instskip(SKIP_2) | instid1(SALU_CYCLE_1)
	s_add_co_i32 s5, s5, s4
	s_cmp_eq_u32 s6, 0
	s_cselect_b32 s4, ttmp9, s5
	v_lshl_add_u32 v2, s4, 4, v0
	s_wait_kmcnt 0x0
	global_load_b64 v[0:1], v2, s[0:1] scale_offset
	s_wait_loadcnt 0x0
	v_add_f64_e64 v[0:1], v[0:1], -v[0:1]
	global_store_b64 v2, v[0:1], s[2:3] scale_offset
	s_endpgm
	.section	.rodata,"a",@progbits
	.p2align	6, 0x0
	.amdhsa_kernel _Z18vector_test_kernelI15HIP_vector_typeIdLj1EELj1ELj16EEvPT_S3_
		.amdhsa_group_segment_fixed_size 0
		.amdhsa_private_segment_fixed_size 0
		.amdhsa_kernarg_size 16
		.amdhsa_user_sgpr_count 2
		.amdhsa_user_sgpr_dispatch_ptr 0
		.amdhsa_user_sgpr_queue_ptr 0
		.amdhsa_user_sgpr_kernarg_segment_ptr 1
		.amdhsa_user_sgpr_dispatch_id 0
		.amdhsa_user_sgpr_kernarg_preload_length 0
		.amdhsa_user_sgpr_kernarg_preload_offset 0
		.amdhsa_user_sgpr_private_segment_size 0
		.amdhsa_wavefront_size32 1
		.amdhsa_uses_dynamic_stack 0
		.amdhsa_enable_private_segment 0
		.amdhsa_system_sgpr_workgroup_id_x 1
		.amdhsa_system_sgpr_workgroup_id_y 0
		.amdhsa_system_sgpr_workgroup_id_z 0
		.amdhsa_system_sgpr_workgroup_info 0
		.amdhsa_system_vgpr_workitem_id 0
		.amdhsa_next_free_vgpr 3
		.amdhsa_next_free_sgpr 7
		.amdhsa_named_barrier_count 0
		.amdhsa_reserve_vcc 0
		.amdhsa_float_round_mode_32 0
		.amdhsa_float_round_mode_16_64 0
		.amdhsa_float_denorm_mode_32 3
		.amdhsa_float_denorm_mode_16_64 3
		.amdhsa_fp16_overflow 0
		.amdhsa_memory_ordered 1
		.amdhsa_forward_progress 1
		.amdhsa_inst_pref_size 1
		.amdhsa_round_robin_scheduling 0
		.amdhsa_exception_fp_ieee_invalid_op 0
		.amdhsa_exception_fp_denorm_src 0
		.amdhsa_exception_fp_ieee_div_zero 0
		.amdhsa_exception_fp_ieee_overflow 0
		.amdhsa_exception_fp_ieee_underflow 0
		.amdhsa_exception_fp_ieee_inexact 0
		.amdhsa_exception_int_div_zero 0
	.end_amdhsa_kernel
	.section	.text._Z18vector_test_kernelI15HIP_vector_typeIdLj1EELj1ELj16EEvPT_S3_,"axG",@progbits,_Z18vector_test_kernelI15HIP_vector_typeIdLj1EELj1ELj16EEvPT_S3_,comdat
.Lfunc_end1:
	.size	_Z18vector_test_kernelI15HIP_vector_typeIdLj1EELj1ELj16EEvPT_S3_, .Lfunc_end1-_Z18vector_test_kernelI15HIP_vector_typeIdLj1EELj1ELj16EEvPT_S3_
                                        ; -- End function
	.set _Z18vector_test_kernelI15HIP_vector_typeIdLj1EELj1ELj16EEvPT_S3_.num_vgpr, 3
	.set _Z18vector_test_kernelI15HIP_vector_typeIdLj1EELj1ELj16EEvPT_S3_.num_agpr, 0
	.set _Z18vector_test_kernelI15HIP_vector_typeIdLj1EELj1ELj16EEvPT_S3_.numbered_sgpr, 7
	.set _Z18vector_test_kernelI15HIP_vector_typeIdLj1EELj1ELj16EEvPT_S3_.num_named_barrier, 0
	.set _Z18vector_test_kernelI15HIP_vector_typeIdLj1EELj1ELj16EEvPT_S3_.private_seg_size, 0
	.set _Z18vector_test_kernelI15HIP_vector_typeIdLj1EELj1ELj16EEvPT_S3_.uses_vcc, 0
	.set _Z18vector_test_kernelI15HIP_vector_typeIdLj1EELj1ELj16EEvPT_S3_.uses_flat_scratch, 0
	.set _Z18vector_test_kernelI15HIP_vector_typeIdLj1EELj1ELj16EEvPT_S3_.has_dyn_sized_stack, 0
	.set _Z18vector_test_kernelI15HIP_vector_typeIdLj1EELj1ELj16EEvPT_S3_.has_recursion, 0
	.set _Z18vector_test_kernelI15HIP_vector_typeIdLj1EELj1ELj16EEvPT_S3_.has_indirect_call, 0
	.section	.AMDGPU.csdata,"",@progbits
; Kernel info:
; codeLenInByte = 100
; TotalNumSgprs: 7
; NumVgprs: 3
; ScratchSize: 0
; MemoryBound: 0
; FloatMode: 240
; IeeeMode: 1
; LDSByteSize: 0 bytes/workgroup (compile time only)
; SGPRBlocks: 0
; VGPRBlocks: 0
; NumSGPRsForWavesPerEU: 7
; NumVGPRsForWavesPerEU: 3
; NamedBarCnt: 0
; Occupancy: 16
; WaveLimiterHint : 0
; COMPUTE_PGM_RSRC2:SCRATCH_EN: 0
; COMPUTE_PGM_RSRC2:USER_SGPR: 2
; COMPUTE_PGM_RSRC2:TRAP_HANDLER: 0
; COMPUTE_PGM_RSRC2:TGID_X_EN: 1
; COMPUTE_PGM_RSRC2:TGID_Y_EN: 0
; COMPUTE_PGM_RSRC2:TGID_Z_EN: 0
; COMPUTE_PGM_RSRC2:TIDIG_COMP_CNT: 0
	.section	.text._Z18vector_test_kernelI15HIP_vector_typeIfLj1EELj1ELj16EEvPT_S3_,"axG",@progbits,_Z18vector_test_kernelI15HIP_vector_typeIfLj1EELj1ELj16EEvPT_S3_,comdat
	.protected	_Z18vector_test_kernelI15HIP_vector_typeIfLj1EELj1ELj16EEvPT_S3_ ; -- Begin function _Z18vector_test_kernelI15HIP_vector_typeIfLj1EELj1ELj16EEvPT_S3_
	.globl	_Z18vector_test_kernelI15HIP_vector_typeIfLj1EELj1ELj16EEvPT_S3_
	.p2align	8
	.type	_Z18vector_test_kernelI15HIP_vector_typeIfLj1EELj1ELj16EEvPT_S3_,@function
_Z18vector_test_kernelI15HIP_vector_typeIfLj1EELj1ELj16EEvPT_S3_: ; @_Z18vector_test_kernelI15HIP_vector_typeIfLj1EELj1ELj16EEvPT_S3_
; %bb.0:
	s_load_b128 s[0:3], s[0:1], 0x0
	s_bfe_u32 s4, ttmp6, 0x4000c
	s_and_b32 s5, ttmp6, 15
	s_add_co_i32 s4, s4, 1
	s_getreg_b32 s6, hwreg(HW_REG_IB_STS2, 6, 4)
	s_mul_i32 s4, ttmp9, s4
	s_delay_alu instid0(SALU_CYCLE_1) | instskip(SKIP_2) | instid1(SALU_CYCLE_1)
	s_add_co_i32 s5, s5, s4
	s_cmp_eq_u32 s6, 0
	s_cselect_b32 s4, ttmp9, s5
	v_lshl_add_u32 v0, s4, 4, v0
	s_wait_kmcnt 0x0
	global_load_b32 v1, v0, s[0:1] scale_offset
	s_wait_loadcnt 0x0
	v_sub_f32_e32 v1, v1, v1
	global_store_b32 v0, v1, s[2:3] scale_offset
	s_endpgm
	.section	.rodata,"a",@progbits
	.p2align	6, 0x0
	.amdhsa_kernel _Z18vector_test_kernelI15HIP_vector_typeIfLj1EELj1ELj16EEvPT_S3_
		.amdhsa_group_segment_fixed_size 0
		.amdhsa_private_segment_fixed_size 0
		.amdhsa_kernarg_size 16
		.amdhsa_user_sgpr_count 2
		.amdhsa_user_sgpr_dispatch_ptr 0
		.amdhsa_user_sgpr_queue_ptr 0
		.amdhsa_user_sgpr_kernarg_segment_ptr 1
		.amdhsa_user_sgpr_dispatch_id 0
		.amdhsa_user_sgpr_kernarg_preload_length 0
		.amdhsa_user_sgpr_kernarg_preload_offset 0
		.amdhsa_user_sgpr_private_segment_size 0
		.amdhsa_wavefront_size32 1
		.amdhsa_uses_dynamic_stack 0
		.amdhsa_enable_private_segment 0
		.amdhsa_system_sgpr_workgroup_id_x 1
		.amdhsa_system_sgpr_workgroup_id_y 0
		.amdhsa_system_sgpr_workgroup_id_z 0
		.amdhsa_system_sgpr_workgroup_info 0
		.amdhsa_system_vgpr_workitem_id 0
		.amdhsa_next_free_vgpr 2
		.amdhsa_next_free_sgpr 7
		.amdhsa_named_barrier_count 0
		.amdhsa_reserve_vcc 0
		.amdhsa_float_round_mode_32 0
		.amdhsa_float_round_mode_16_64 0
		.amdhsa_float_denorm_mode_32 3
		.amdhsa_float_denorm_mode_16_64 3
		.amdhsa_fp16_overflow 0
		.amdhsa_memory_ordered 1
		.amdhsa_forward_progress 1
		.amdhsa_inst_pref_size 1
		.amdhsa_round_robin_scheduling 0
		.amdhsa_exception_fp_ieee_invalid_op 0
		.amdhsa_exception_fp_denorm_src 0
		.amdhsa_exception_fp_ieee_div_zero 0
		.amdhsa_exception_fp_ieee_overflow 0
		.amdhsa_exception_fp_ieee_underflow 0
		.amdhsa_exception_fp_ieee_inexact 0
		.amdhsa_exception_int_div_zero 0
	.end_amdhsa_kernel
	.section	.text._Z18vector_test_kernelI15HIP_vector_typeIfLj1EELj1ELj16EEvPT_S3_,"axG",@progbits,_Z18vector_test_kernelI15HIP_vector_typeIfLj1EELj1ELj16EEvPT_S3_,comdat
.Lfunc_end2:
	.size	_Z18vector_test_kernelI15HIP_vector_typeIfLj1EELj1ELj16EEvPT_S3_, .Lfunc_end2-_Z18vector_test_kernelI15HIP_vector_typeIfLj1EELj1ELj16EEvPT_S3_
                                        ; -- End function
	.set _Z18vector_test_kernelI15HIP_vector_typeIfLj1EELj1ELj16EEvPT_S3_.num_vgpr, 2
	.set _Z18vector_test_kernelI15HIP_vector_typeIfLj1EELj1ELj16EEvPT_S3_.num_agpr, 0
	.set _Z18vector_test_kernelI15HIP_vector_typeIfLj1EELj1ELj16EEvPT_S3_.numbered_sgpr, 7
	.set _Z18vector_test_kernelI15HIP_vector_typeIfLj1EELj1ELj16EEvPT_S3_.num_named_barrier, 0
	.set _Z18vector_test_kernelI15HIP_vector_typeIfLj1EELj1ELj16EEvPT_S3_.private_seg_size, 0
	.set _Z18vector_test_kernelI15HIP_vector_typeIfLj1EELj1ELj16EEvPT_S3_.uses_vcc, 0
	.set _Z18vector_test_kernelI15HIP_vector_typeIfLj1EELj1ELj16EEvPT_S3_.uses_flat_scratch, 0
	.set _Z18vector_test_kernelI15HIP_vector_typeIfLj1EELj1ELj16EEvPT_S3_.has_dyn_sized_stack, 0
	.set _Z18vector_test_kernelI15HIP_vector_typeIfLj1EELj1ELj16EEvPT_S3_.has_recursion, 0
	.set _Z18vector_test_kernelI15HIP_vector_typeIfLj1EELj1ELj16EEvPT_S3_.has_indirect_call, 0
	.section	.AMDGPU.csdata,"",@progbits
; Kernel info:
; codeLenInByte = 96
; TotalNumSgprs: 7
; NumVgprs: 2
; ScratchSize: 0
; MemoryBound: 0
; FloatMode: 240
; IeeeMode: 1
; LDSByteSize: 0 bytes/workgroup (compile time only)
; SGPRBlocks: 0
; VGPRBlocks: 0
; NumSGPRsForWavesPerEU: 7
; NumVGPRsForWavesPerEU: 2
; NamedBarCnt: 0
; Occupancy: 16
; WaveLimiterHint : 0
; COMPUTE_PGM_RSRC2:SCRATCH_EN: 0
; COMPUTE_PGM_RSRC2:USER_SGPR: 2
; COMPUTE_PGM_RSRC2:TRAP_HANDLER: 0
; COMPUTE_PGM_RSRC2:TGID_X_EN: 1
; COMPUTE_PGM_RSRC2:TGID_Y_EN: 0
; COMPUTE_PGM_RSRC2:TGID_Z_EN: 0
; COMPUTE_PGM_RSRC2:TIDIG_COMP_CNT: 0
	.section	.text._Z18vector_test_kernelI15HIP_vector_typeIyLj1EELj1ELj16EEvPT_S3_,"axG",@progbits,_Z18vector_test_kernelI15HIP_vector_typeIyLj1EELj1ELj16EEvPT_S3_,comdat
	.protected	_Z18vector_test_kernelI15HIP_vector_typeIyLj1EELj1ELj16EEvPT_S3_ ; -- Begin function _Z18vector_test_kernelI15HIP_vector_typeIyLj1EELj1ELj16EEvPT_S3_
	.globl	_Z18vector_test_kernelI15HIP_vector_typeIyLj1EELj1ELj16EEvPT_S3_
	.p2align	8
	.type	_Z18vector_test_kernelI15HIP_vector_typeIyLj1EELj1ELj16EEvPT_S3_,@function
_Z18vector_test_kernelI15HIP_vector_typeIyLj1EELj1ELj16EEvPT_S3_: ; @_Z18vector_test_kernelI15HIP_vector_typeIyLj1EELj1ELj16EEvPT_S3_
; %bb.0:
	s_load_b64 s[0:1], s[0:1], 0x8
	s_bfe_u32 s2, ttmp6, 0x4000c
	s_and_b32 s3, ttmp6, 15
	s_add_co_i32 s2, s2, 1
	s_getreg_b32 s4, hwreg(HW_REG_IB_STS2, 6, 4)
	s_mul_i32 s2, ttmp9, s2
	v_mov_b64_e32 v[2:3], 0
	s_add_co_i32 s3, s3, s2
	s_cmp_eq_u32 s4, 0
	s_cselect_b32 s2, ttmp9, s3
	s_delay_alu instid0(SALU_CYCLE_1)
	v_lshl_add_u32 v0, s2, 4, v0
	s_wait_kmcnt 0x0
	global_store_b64 v0, v[2:3], s[0:1] scale_offset
	s_endpgm
	.section	.rodata,"a",@progbits
	.p2align	6, 0x0
	.amdhsa_kernel _Z18vector_test_kernelI15HIP_vector_typeIyLj1EELj1ELj16EEvPT_S3_
		.amdhsa_group_segment_fixed_size 0
		.amdhsa_private_segment_fixed_size 0
		.amdhsa_kernarg_size 16
		.amdhsa_user_sgpr_count 2
		.amdhsa_user_sgpr_dispatch_ptr 0
		.amdhsa_user_sgpr_queue_ptr 0
		.amdhsa_user_sgpr_kernarg_segment_ptr 1
		.amdhsa_user_sgpr_dispatch_id 0
		.amdhsa_user_sgpr_kernarg_preload_length 0
		.amdhsa_user_sgpr_kernarg_preload_offset 0
		.amdhsa_user_sgpr_private_segment_size 0
		.amdhsa_wavefront_size32 1
		.amdhsa_uses_dynamic_stack 0
		.amdhsa_enable_private_segment 0
		.amdhsa_system_sgpr_workgroup_id_x 1
		.amdhsa_system_sgpr_workgroup_id_y 0
		.amdhsa_system_sgpr_workgroup_id_z 0
		.amdhsa_system_sgpr_workgroup_info 0
		.amdhsa_system_vgpr_workitem_id 0
		.amdhsa_next_free_vgpr 4
		.amdhsa_next_free_sgpr 5
		.amdhsa_named_barrier_count 0
		.amdhsa_reserve_vcc 0
		.amdhsa_float_round_mode_32 0
		.amdhsa_float_round_mode_16_64 0
		.amdhsa_float_denorm_mode_32 3
		.amdhsa_float_denorm_mode_16_64 3
		.amdhsa_fp16_overflow 0
		.amdhsa_memory_ordered 1
		.amdhsa_forward_progress 1
		.amdhsa_inst_pref_size 1
		.amdhsa_round_robin_scheduling 0
		.amdhsa_exception_fp_ieee_invalid_op 0
		.amdhsa_exception_fp_denorm_src 0
		.amdhsa_exception_fp_ieee_div_zero 0
		.amdhsa_exception_fp_ieee_overflow 0
		.amdhsa_exception_fp_ieee_underflow 0
		.amdhsa_exception_fp_ieee_inexact 0
		.amdhsa_exception_int_div_zero 0
	.end_amdhsa_kernel
	.section	.text._Z18vector_test_kernelI15HIP_vector_typeIyLj1EELj1ELj16EEvPT_S3_,"axG",@progbits,_Z18vector_test_kernelI15HIP_vector_typeIyLj1EELj1ELj16EEvPT_S3_,comdat
.Lfunc_end3:
	.size	_Z18vector_test_kernelI15HIP_vector_typeIyLj1EELj1ELj16EEvPT_S3_, .Lfunc_end3-_Z18vector_test_kernelI15HIP_vector_typeIyLj1EELj1ELj16EEvPT_S3_
                                        ; -- End function
	.set _Z18vector_test_kernelI15HIP_vector_typeIyLj1EELj1ELj16EEvPT_S3_.num_vgpr, 4
	.set _Z18vector_test_kernelI15HIP_vector_typeIyLj1EELj1ELj16EEvPT_S3_.num_agpr, 0
	.set _Z18vector_test_kernelI15HIP_vector_typeIyLj1EELj1ELj16EEvPT_S3_.numbered_sgpr, 5
	.set _Z18vector_test_kernelI15HIP_vector_typeIyLj1EELj1ELj16EEvPT_S3_.num_named_barrier, 0
	.set _Z18vector_test_kernelI15HIP_vector_typeIyLj1EELj1ELj16EEvPT_S3_.private_seg_size, 0
	.set _Z18vector_test_kernelI15HIP_vector_typeIyLj1EELj1ELj16EEvPT_S3_.uses_vcc, 0
	.set _Z18vector_test_kernelI15HIP_vector_typeIyLj1EELj1ELj16EEvPT_S3_.uses_flat_scratch, 0
	.set _Z18vector_test_kernelI15HIP_vector_typeIyLj1EELj1ELj16EEvPT_S3_.has_dyn_sized_stack, 0
	.set _Z18vector_test_kernelI15HIP_vector_typeIyLj1EELj1ELj16EEvPT_S3_.has_recursion, 0
	.set _Z18vector_test_kernelI15HIP_vector_typeIyLj1EELj1ELj16EEvPT_S3_.has_indirect_call, 0
	.section	.AMDGPU.csdata,"",@progbits
; Kernel info:
; codeLenInByte = 80
; TotalNumSgprs: 5
; NumVgprs: 4
; ScratchSize: 0
; MemoryBound: 0
; FloatMode: 240
; IeeeMode: 1
; LDSByteSize: 0 bytes/workgroup (compile time only)
; SGPRBlocks: 0
; VGPRBlocks: 0
; NumSGPRsForWavesPerEU: 5
; NumVGPRsForWavesPerEU: 4
; NamedBarCnt: 0
; Occupancy: 16
; WaveLimiterHint : 0
; COMPUTE_PGM_RSRC2:SCRATCH_EN: 0
; COMPUTE_PGM_RSRC2:USER_SGPR: 2
; COMPUTE_PGM_RSRC2:TRAP_HANDLER: 0
; COMPUTE_PGM_RSRC2:TGID_X_EN: 1
; COMPUTE_PGM_RSRC2:TGID_Y_EN: 0
; COMPUTE_PGM_RSRC2:TGID_Z_EN: 0
; COMPUTE_PGM_RSRC2:TIDIG_COMP_CNT: 0
	.section	.text._Z18vector_test_kernelI15HIP_vector_typeIxLj1EELj1ELj16EEvPT_S3_,"axG",@progbits,_Z18vector_test_kernelI15HIP_vector_typeIxLj1EELj1ELj16EEvPT_S3_,comdat
	.protected	_Z18vector_test_kernelI15HIP_vector_typeIxLj1EELj1ELj16EEvPT_S3_ ; -- Begin function _Z18vector_test_kernelI15HIP_vector_typeIxLj1EELj1ELj16EEvPT_S3_
	.globl	_Z18vector_test_kernelI15HIP_vector_typeIxLj1EELj1ELj16EEvPT_S3_
	.p2align	8
	.type	_Z18vector_test_kernelI15HIP_vector_typeIxLj1EELj1ELj16EEvPT_S3_,@function
_Z18vector_test_kernelI15HIP_vector_typeIxLj1EELj1ELj16EEvPT_S3_: ; @_Z18vector_test_kernelI15HIP_vector_typeIxLj1EELj1ELj16EEvPT_S3_
; %bb.0:
	s_load_b64 s[0:1], s[0:1], 0x8
	s_bfe_u32 s2, ttmp6, 0x4000c
	s_and_b32 s3, ttmp6, 15
	s_add_co_i32 s2, s2, 1
	s_getreg_b32 s4, hwreg(HW_REG_IB_STS2, 6, 4)
	s_mul_i32 s2, ttmp9, s2
	v_mov_b64_e32 v[2:3], 0
	s_add_co_i32 s3, s3, s2
	s_cmp_eq_u32 s4, 0
	s_cselect_b32 s2, ttmp9, s3
	s_delay_alu instid0(SALU_CYCLE_1)
	v_lshl_add_u32 v0, s2, 4, v0
	s_wait_kmcnt 0x0
	global_store_b64 v0, v[2:3], s[0:1] scale_offset
	s_endpgm
	.section	.rodata,"a",@progbits
	.p2align	6, 0x0
	.amdhsa_kernel _Z18vector_test_kernelI15HIP_vector_typeIxLj1EELj1ELj16EEvPT_S3_
		.amdhsa_group_segment_fixed_size 0
		.amdhsa_private_segment_fixed_size 0
		.amdhsa_kernarg_size 16
		.amdhsa_user_sgpr_count 2
		.amdhsa_user_sgpr_dispatch_ptr 0
		.amdhsa_user_sgpr_queue_ptr 0
		.amdhsa_user_sgpr_kernarg_segment_ptr 1
		.amdhsa_user_sgpr_dispatch_id 0
		.amdhsa_user_sgpr_kernarg_preload_length 0
		.amdhsa_user_sgpr_kernarg_preload_offset 0
		.amdhsa_user_sgpr_private_segment_size 0
		.amdhsa_wavefront_size32 1
		.amdhsa_uses_dynamic_stack 0
		.amdhsa_enable_private_segment 0
		.amdhsa_system_sgpr_workgroup_id_x 1
		.amdhsa_system_sgpr_workgroup_id_y 0
		.amdhsa_system_sgpr_workgroup_id_z 0
		.amdhsa_system_sgpr_workgroup_info 0
		.amdhsa_system_vgpr_workitem_id 0
		.amdhsa_next_free_vgpr 4
		.amdhsa_next_free_sgpr 5
		.amdhsa_named_barrier_count 0
		.amdhsa_reserve_vcc 0
		.amdhsa_float_round_mode_32 0
		.amdhsa_float_round_mode_16_64 0
		.amdhsa_float_denorm_mode_32 3
		.amdhsa_float_denorm_mode_16_64 3
		.amdhsa_fp16_overflow 0
		.amdhsa_memory_ordered 1
		.amdhsa_forward_progress 1
		.amdhsa_inst_pref_size 1
		.amdhsa_round_robin_scheduling 0
		.amdhsa_exception_fp_ieee_invalid_op 0
		.amdhsa_exception_fp_denorm_src 0
		.amdhsa_exception_fp_ieee_div_zero 0
		.amdhsa_exception_fp_ieee_overflow 0
		.amdhsa_exception_fp_ieee_underflow 0
		.amdhsa_exception_fp_ieee_inexact 0
		.amdhsa_exception_int_div_zero 0
	.end_amdhsa_kernel
	.section	.text._Z18vector_test_kernelI15HIP_vector_typeIxLj1EELj1ELj16EEvPT_S3_,"axG",@progbits,_Z18vector_test_kernelI15HIP_vector_typeIxLj1EELj1ELj16EEvPT_S3_,comdat
.Lfunc_end4:
	.size	_Z18vector_test_kernelI15HIP_vector_typeIxLj1EELj1ELj16EEvPT_S3_, .Lfunc_end4-_Z18vector_test_kernelI15HIP_vector_typeIxLj1EELj1ELj16EEvPT_S3_
                                        ; -- End function
	.set _Z18vector_test_kernelI15HIP_vector_typeIxLj1EELj1ELj16EEvPT_S3_.num_vgpr, 4
	.set _Z18vector_test_kernelI15HIP_vector_typeIxLj1EELj1ELj16EEvPT_S3_.num_agpr, 0
	.set _Z18vector_test_kernelI15HIP_vector_typeIxLj1EELj1ELj16EEvPT_S3_.numbered_sgpr, 5
	.set _Z18vector_test_kernelI15HIP_vector_typeIxLj1EELj1ELj16EEvPT_S3_.num_named_barrier, 0
	.set _Z18vector_test_kernelI15HIP_vector_typeIxLj1EELj1ELj16EEvPT_S3_.private_seg_size, 0
	.set _Z18vector_test_kernelI15HIP_vector_typeIxLj1EELj1ELj16EEvPT_S3_.uses_vcc, 0
	.set _Z18vector_test_kernelI15HIP_vector_typeIxLj1EELj1ELj16EEvPT_S3_.uses_flat_scratch, 0
	.set _Z18vector_test_kernelI15HIP_vector_typeIxLj1EELj1ELj16EEvPT_S3_.has_dyn_sized_stack, 0
	.set _Z18vector_test_kernelI15HIP_vector_typeIxLj1EELj1ELj16EEvPT_S3_.has_recursion, 0
	.set _Z18vector_test_kernelI15HIP_vector_typeIxLj1EELj1ELj16EEvPT_S3_.has_indirect_call, 0
	.section	.AMDGPU.csdata,"",@progbits
; Kernel info:
; codeLenInByte = 80
; TotalNumSgprs: 5
; NumVgprs: 4
; ScratchSize: 0
; MemoryBound: 0
; FloatMode: 240
; IeeeMode: 1
; LDSByteSize: 0 bytes/workgroup (compile time only)
; SGPRBlocks: 0
; VGPRBlocks: 0
; NumSGPRsForWavesPerEU: 5
; NumVGPRsForWavesPerEU: 4
; NamedBarCnt: 0
; Occupancy: 16
; WaveLimiterHint : 0
; COMPUTE_PGM_RSRC2:SCRATCH_EN: 0
; COMPUTE_PGM_RSRC2:USER_SGPR: 2
; COMPUTE_PGM_RSRC2:TRAP_HANDLER: 0
; COMPUTE_PGM_RSRC2:TGID_X_EN: 1
; COMPUTE_PGM_RSRC2:TGID_Y_EN: 0
; COMPUTE_PGM_RSRC2:TGID_Z_EN: 0
; COMPUTE_PGM_RSRC2:TIDIG_COMP_CNT: 0
	.section	.text._Z18vector_test_kernelI15HIP_vector_typeImLj1EELj1ELj16EEvPT_S3_,"axG",@progbits,_Z18vector_test_kernelI15HIP_vector_typeImLj1EELj1ELj16EEvPT_S3_,comdat
	.protected	_Z18vector_test_kernelI15HIP_vector_typeImLj1EELj1ELj16EEvPT_S3_ ; -- Begin function _Z18vector_test_kernelI15HIP_vector_typeImLj1EELj1ELj16EEvPT_S3_
	.globl	_Z18vector_test_kernelI15HIP_vector_typeImLj1EELj1ELj16EEvPT_S3_
	.p2align	8
	.type	_Z18vector_test_kernelI15HIP_vector_typeImLj1EELj1ELj16EEvPT_S3_,@function
_Z18vector_test_kernelI15HIP_vector_typeImLj1EELj1ELj16EEvPT_S3_: ; @_Z18vector_test_kernelI15HIP_vector_typeImLj1EELj1ELj16EEvPT_S3_
; %bb.0:
	s_load_b64 s[0:1], s[0:1], 0x8
	s_bfe_u32 s2, ttmp6, 0x4000c
	s_and_b32 s3, ttmp6, 15
	s_add_co_i32 s2, s2, 1
	s_getreg_b32 s4, hwreg(HW_REG_IB_STS2, 6, 4)
	s_mul_i32 s2, ttmp9, s2
	v_mov_b64_e32 v[2:3], 0
	s_add_co_i32 s3, s3, s2
	s_cmp_eq_u32 s4, 0
	s_cselect_b32 s2, ttmp9, s3
	s_delay_alu instid0(SALU_CYCLE_1)
	v_lshl_add_u32 v0, s2, 4, v0
	s_wait_kmcnt 0x0
	global_store_b64 v0, v[2:3], s[0:1] scale_offset
	s_endpgm
	.section	.rodata,"a",@progbits
	.p2align	6, 0x0
	.amdhsa_kernel _Z18vector_test_kernelI15HIP_vector_typeImLj1EELj1ELj16EEvPT_S3_
		.amdhsa_group_segment_fixed_size 0
		.amdhsa_private_segment_fixed_size 0
		.amdhsa_kernarg_size 16
		.amdhsa_user_sgpr_count 2
		.amdhsa_user_sgpr_dispatch_ptr 0
		.amdhsa_user_sgpr_queue_ptr 0
		.amdhsa_user_sgpr_kernarg_segment_ptr 1
		.amdhsa_user_sgpr_dispatch_id 0
		.amdhsa_user_sgpr_kernarg_preload_length 0
		.amdhsa_user_sgpr_kernarg_preload_offset 0
		.amdhsa_user_sgpr_private_segment_size 0
		.amdhsa_wavefront_size32 1
		.amdhsa_uses_dynamic_stack 0
		.amdhsa_enable_private_segment 0
		.amdhsa_system_sgpr_workgroup_id_x 1
		.amdhsa_system_sgpr_workgroup_id_y 0
		.amdhsa_system_sgpr_workgroup_id_z 0
		.amdhsa_system_sgpr_workgroup_info 0
		.amdhsa_system_vgpr_workitem_id 0
		.amdhsa_next_free_vgpr 4
		.amdhsa_next_free_sgpr 5
		.amdhsa_named_barrier_count 0
		.amdhsa_reserve_vcc 0
		.amdhsa_float_round_mode_32 0
		.amdhsa_float_round_mode_16_64 0
		.amdhsa_float_denorm_mode_32 3
		.amdhsa_float_denorm_mode_16_64 3
		.amdhsa_fp16_overflow 0
		.amdhsa_memory_ordered 1
		.amdhsa_forward_progress 1
		.amdhsa_inst_pref_size 1
		.amdhsa_round_robin_scheduling 0
		.amdhsa_exception_fp_ieee_invalid_op 0
		.amdhsa_exception_fp_denorm_src 0
		.amdhsa_exception_fp_ieee_div_zero 0
		.amdhsa_exception_fp_ieee_overflow 0
		.amdhsa_exception_fp_ieee_underflow 0
		.amdhsa_exception_fp_ieee_inexact 0
		.amdhsa_exception_int_div_zero 0
	.end_amdhsa_kernel
	.section	.text._Z18vector_test_kernelI15HIP_vector_typeImLj1EELj1ELj16EEvPT_S3_,"axG",@progbits,_Z18vector_test_kernelI15HIP_vector_typeImLj1EELj1ELj16EEvPT_S3_,comdat
.Lfunc_end5:
	.size	_Z18vector_test_kernelI15HIP_vector_typeImLj1EELj1ELj16EEvPT_S3_, .Lfunc_end5-_Z18vector_test_kernelI15HIP_vector_typeImLj1EELj1ELj16EEvPT_S3_
                                        ; -- End function
	.set _Z18vector_test_kernelI15HIP_vector_typeImLj1EELj1ELj16EEvPT_S3_.num_vgpr, 4
	.set _Z18vector_test_kernelI15HIP_vector_typeImLj1EELj1ELj16EEvPT_S3_.num_agpr, 0
	.set _Z18vector_test_kernelI15HIP_vector_typeImLj1EELj1ELj16EEvPT_S3_.numbered_sgpr, 5
	.set _Z18vector_test_kernelI15HIP_vector_typeImLj1EELj1ELj16EEvPT_S3_.num_named_barrier, 0
	.set _Z18vector_test_kernelI15HIP_vector_typeImLj1EELj1ELj16EEvPT_S3_.private_seg_size, 0
	.set _Z18vector_test_kernelI15HIP_vector_typeImLj1EELj1ELj16EEvPT_S3_.uses_vcc, 0
	.set _Z18vector_test_kernelI15HIP_vector_typeImLj1EELj1ELj16EEvPT_S3_.uses_flat_scratch, 0
	.set _Z18vector_test_kernelI15HIP_vector_typeImLj1EELj1ELj16EEvPT_S3_.has_dyn_sized_stack, 0
	.set _Z18vector_test_kernelI15HIP_vector_typeImLj1EELj1ELj16EEvPT_S3_.has_recursion, 0
	.set _Z18vector_test_kernelI15HIP_vector_typeImLj1EELj1ELj16EEvPT_S3_.has_indirect_call, 0
	.section	.AMDGPU.csdata,"",@progbits
; Kernel info:
; codeLenInByte = 80
; TotalNumSgprs: 5
; NumVgprs: 4
; ScratchSize: 0
; MemoryBound: 0
; FloatMode: 240
; IeeeMode: 1
; LDSByteSize: 0 bytes/workgroup (compile time only)
; SGPRBlocks: 0
; VGPRBlocks: 0
; NumSGPRsForWavesPerEU: 5
; NumVGPRsForWavesPerEU: 4
; NamedBarCnt: 0
; Occupancy: 16
; WaveLimiterHint : 0
; COMPUTE_PGM_RSRC2:SCRATCH_EN: 0
; COMPUTE_PGM_RSRC2:USER_SGPR: 2
; COMPUTE_PGM_RSRC2:TRAP_HANDLER: 0
; COMPUTE_PGM_RSRC2:TGID_X_EN: 1
; COMPUTE_PGM_RSRC2:TGID_Y_EN: 0
; COMPUTE_PGM_RSRC2:TGID_Z_EN: 0
; COMPUTE_PGM_RSRC2:TIDIG_COMP_CNT: 0
	.section	.text._Z18vector_test_kernelI15HIP_vector_typeIlLj1EELj1ELj16EEvPT_S3_,"axG",@progbits,_Z18vector_test_kernelI15HIP_vector_typeIlLj1EELj1ELj16EEvPT_S3_,comdat
	.protected	_Z18vector_test_kernelI15HIP_vector_typeIlLj1EELj1ELj16EEvPT_S3_ ; -- Begin function _Z18vector_test_kernelI15HIP_vector_typeIlLj1EELj1ELj16EEvPT_S3_
	.globl	_Z18vector_test_kernelI15HIP_vector_typeIlLj1EELj1ELj16EEvPT_S3_
	.p2align	8
	.type	_Z18vector_test_kernelI15HIP_vector_typeIlLj1EELj1ELj16EEvPT_S3_,@function
_Z18vector_test_kernelI15HIP_vector_typeIlLj1EELj1ELj16EEvPT_S3_: ; @_Z18vector_test_kernelI15HIP_vector_typeIlLj1EELj1ELj16EEvPT_S3_
; %bb.0:
	s_load_b64 s[0:1], s[0:1], 0x8
	s_bfe_u32 s2, ttmp6, 0x4000c
	s_and_b32 s3, ttmp6, 15
	s_add_co_i32 s2, s2, 1
	s_getreg_b32 s4, hwreg(HW_REG_IB_STS2, 6, 4)
	s_mul_i32 s2, ttmp9, s2
	v_mov_b64_e32 v[2:3], 0
	s_add_co_i32 s3, s3, s2
	s_cmp_eq_u32 s4, 0
	s_cselect_b32 s2, ttmp9, s3
	s_delay_alu instid0(SALU_CYCLE_1)
	v_lshl_add_u32 v0, s2, 4, v0
	s_wait_kmcnt 0x0
	global_store_b64 v0, v[2:3], s[0:1] scale_offset
	s_endpgm
	.section	.rodata,"a",@progbits
	.p2align	6, 0x0
	.amdhsa_kernel _Z18vector_test_kernelI15HIP_vector_typeIlLj1EELj1ELj16EEvPT_S3_
		.amdhsa_group_segment_fixed_size 0
		.amdhsa_private_segment_fixed_size 0
		.amdhsa_kernarg_size 16
		.amdhsa_user_sgpr_count 2
		.amdhsa_user_sgpr_dispatch_ptr 0
		.amdhsa_user_sgpr_queue_ptr 0
		.amdhsa_user_sgpr_kernarg_segment_ptr 1
		.amdhsa_user_sgpr_dispatch_id 0
		.amdhsa_user_sgpr_kernarg_preload_length 0
		.amdhsa_user_sgpr_kernarg_preload_offset 0
		.amdhsa_user_sgpr_private_segment_size 0
		.amdhsa_wavefront_size32 1
		.amdhsa_uses_dynamic_stack 0
		.amdhsa_enable_private_segment 0
		.amdhsa_system_sgpr_workgroup_id_x 1
		.amdhsa_system_sgpr_workgroup_id_y 0
		.amdhsa_system_sgpr_workgroup_id_z 0
		.amdhsa_system_sgpr_workgroup_info 0
		.amdhsa_system_vgpr_workitem_id 0
		.amdhsa_next_free_vgpr 4
		.amdhsa_next_free_sgpr 5
		.amdhsa_named_barrier_count 0
		.amdhsa_reserve_vcc 0
		.amdhsa_float_round_mode_32 0
		.amdhsa_float_round_mode_16_64 0
		.amdhsa_float_denorm_mode_32 3
		.amdhsa_float_denorm_mode_16_64 3
		.amdhsa_fp16_overflow 0
		.amdhsa_memory_ordered 1
		.amdhsa_forward_progress 1
		.amdhsa_inst_pref_size 1
		.amdhsa_round_robin_scheduling 0
		.amdhsa_exception_fp_ieee_invalid_op 0
		.amdhsa_exception_fp_denorm_src 0
		.amdhsa_exception_fp_ieee_div_zero 0
		.amdhsa_exception_fp_ieee_overflow 0
		.amdhsa_exception_fp_ieee_underflow 0
		.amdhsa_exception_fp_ieee_inexact 0
		.amdhsa_exception_int_div_zero 0
	.end_amdhsa_kernel
	.section	.text._Z18vector_test_kernelI15HIP_vector_typeIlLj1EELj1ELj16EEvPT_S3_,"axG",@progbits,_Z18vector_test_kernelI15HIP_vector_typeIlLj1EELj1ELj16EEvPT_S3_,comdat
.Lfunc_end6:
	.size	_Z18vector_test_kernelI15HIP_vector_typeIlLj1EELj1ELj16EEvPT_S3_, .Lfunc_end6-_Z18vector_test_kernelI15HIP_vector_typeIlLj1EELj1ELj16EEvPT_S3_
                                        ; -- End function
	.set _Z18vector_test_kernelI15HIP_vector_typeIlLj1EELj1ELj16EEvPT_S3_.num_vgpr, 4
	.set _Z18vector_test_kernelI15HIP_vector_typeIlLj1EELj1ELj16EEvPT_S3_.num_agpr, 0
	.set _Z18vector_test_kernelI15HIP_vector_typeIlLj1EELj1ELj16EEvPT_S3_.numbered_sgpr, 5
	.set _Z18vector_test_kernelI15HIP_vector_typeIlLj1EELj1ELj16EEvPT_S3_.num_named_barrier, 0
	.set _Z18vector_test_kernelI15HIP_vector_typeIlLj1EELj1ELj16EEvPT_S3_.private_seg_size, 0
	.set _Z18vector_test_kernelI15HIP_vector_typeIlLj1EELj1ELj16EEvPT_S3_.uses_vcc, 0
	.set _Z18vector_test_kernelI15HIP_vector_typeIlLj1EELj1ELj16EEvPT_S3_.uses_flat_scratch, 0
	.set _Z18vector_test_kernelI15HIP_vector_typeIlLj1EELj1ELj16EEvPT_S3_.has_dyn_sized_stack, 0
	.set _Z18vector_test_kernelI15HIP_vector_typeIlLj1EELj1ELj16EEvPT_S3_.has_recursion, 0
	.set _Z18vector_test_kernelI15HIP_vector_typeIlLj1EELj1ELj16EEvPT_S3_.has_indirect_call, 0
	.section	.AMDGPU.csdata,"",@progbits
; Kernel info:
; codeLenInByte = 80
; TotalNumSgprs: 5
; NumVgprs: 4
; ScratchSize: 0
; MemoryBound: 0
; FloatMode: 240
; IeeeMode: 1
; LDSByteSize: 0 bytes/workgroup (compile time only)
; SGPRBlocks: 0
; VGPRBlocks: 0
; NumSGPRsForWavesPerEU: 5
; NumVGPRsForWavesPerEU: 4
; NamedBarCnt: 0
; Occupancy: 16
; WaveLimiterHint : 0
; COMPUTE_PGM_RSRC2:SCRATCH_EN: 0
; COMPUTE_PGM_RSRC2:USER_SGPR: 2
; COMPUTE_PGM_RSRC2:TRAP_HANDLER: 0
; COMPUTE_PGM_RSRC2:TGID_X_EN: 1
; COMPUTE_PGM_RSRC2:TGID_Y_EN: 0
; COMPUTE_PGM_RSRC2:TGID_Z_EN: 0
; COMPUTE_PGM_RSRC2:TIDIG_COMP_CNT: 0
	.section	.text._Z18vector_test_kernelI15HIP_vector_typeIjLj1EELj1ELj16EEvPT_S3_,"axG",@progbits,_Z18vector_test_kernelI15HIP_vector_typeIjLj1EELj1ELj16EEvPT_S3_,comdat
	.protected	_Z18vector_test_kernelI15HIP_vector_typeIjLj1EELj1ELj16EEvPT_S3_ ; -- Begin function _Z18vector_test_kernelI15HIP_vector_typeIjLj1EELj1ELj16EEvPT_S3_
	.globl	_Z18vector_test_kernelI15HIP_vector_typeIjLj1EELj1ELj16EEvPT_S3_
	.p2align	8
	.type	_Z18vector_test_kernelI15HIP_vector_typeIjLj1EELj1ELj16EEvPT_S3_,@function
_Z18vector_test_kernelI15HIP_vector_typeIjLj1EELj1ELj16EEvPT_S3_: ; @_Z18vector_test_kernelI15HIP_vector_typeIjLj1EELj1ELj16EEvPT_S3_
; %bb.0:
	s_load_b64 s[0:1], s[0:1], 0x8
	s_bfe_u32 s2, ttmp6, 0x4000c
	s_and_b32 s3, ttmp6, 15
	s_add_co_i32 s2, s2, 1
	s_getreg_b32 s4, hwreg(HW_REG_IB_STS2, 6, 4)
	s_mul_i32 s2, ttmp9, s2
	v_mov_b32_e32 v1, 0
	s_add_co_i32 s3, s3, s2
	s_cmp_eq_u32 s4, 0
	s_cselect_b32 s2, ttmp9, s3
	s_delay_alu instid0(SALU_CYCLE_1)
	v_lshl_add_u32 v0, s2, 4, v0
	s_wait_kmcnt 0x0
	global_store_b32 v0, v1, s[0:1] scale_offset
	s_endpgm
	.section	.rodata,"a",@progbits
	.p2align	6, 0x0
	.amdhsa_kernel _Z18vector_test_kernelI15HIP_vector_typeIjLj1EELj1ELj16EEvPT_S3_
		.amdhsa_group_segment_fixed_size 0
		.amdhsa_private_segment_fixed_size 0
		.amdhsa_kernarg_size 16
		.amdhsa_user_sgpr_count 2
		.amdhsa_user_sgpr_dispatch_ptr 0
		.amdhsa_user_sgpr_queue_ptr 0
		.amdhsa_user_sgpr_kernarg_segment_ptr 1
		.amdhsa_user_sgpr_dispatch_id 0
		.amdhsa_user_sgpr_kernarg_preload_length 0
		.amdhsa_user_sgpr_kernarg_preload_offset 0
		.amdhsa_user_sgpr_private_segment_size 0
		.amdhsa_wavefront_size32 1
		.amdhsa_uses_dynamic_stack 0
		.amdhsa_enable_private_segment 0
		.amdhsa_system_sgpr_workgroup_id_x 1
		.amdhsa_system_sgpr_workgroup_id_y 0
		.amdhsa_system_sgpr_workgroup_id_z 0
		.amdhsa_system_sgpr_workgroup_info 0
		.amdhsa_system_vgpr_workitem_id 0
		.amdhsa_next_free_vgpr 2
		.amdhsa_next_free_sgpr 5
		.amdhsa_named_barrier_count 0
		.amdhsa_reserve_vcc 0
		.amdhsa_float_round_mode_32 0
		.amdhsa_float_round_mode_16_64 0
		.amdhsa_float_denorm_mode_32 3
		.amdhsa_float_denorm_mode_16_64 3
		.amdhsa_fp16_overflow 0
		.amdhsa_memory_ordered 1
		.amdhsa_forward_progress 1
		.amdhsa_inst_pref_size 1
		.amdhsa_round_robin_scheduling 0
		.amdhsa_exception_fp_ieee_invalid_op 0
		.amdhsa_exception_fp_denorm_src 0
		.amdhsa_exception_fp_ieee_div_zero 0
		.amdhsa_exception_fp_ieee_overflow 0
		.amdhsa_exception_fp_ieee_underflow 0
		.amdhsa_exception_fp_ieee_inexact 0
		.amdhsa_exception_int_div_zero 0
	.end_amdhsa_kernel
	.section	.text._Z18vector_test_kernelI15HIP_vector_typeIjLj1EELj1ELj16EEvPT_S3_,"axG",@progbits,_Z18vector_test_kernelI15HIP_vector_typeIjLj1EELj1ELj16EEvPT_S3_,comdat
.Lfunc_end7:
	.size	_Z18vector_test_kernelI15HIP_vector_typeIjLj1EELj1ELj16EEvPT_S3_, .Lfunc_end7-_Z18vector_test_kernelI15HIP_vector_typeIjLj1EELj1ELj16EEvPT_S3_
                                        ; -- End function
	.set _Z18vector_test_kernelI15HIP_vector_typeIjLj1EELj1ELj16EEvPT_S3_.num_vgpr, 2
	.set _Z18vector_test_kernelI15HIP_vector_typeIjLj1EELj1ELj16EEvPT_S3_.num_agpr, 0
	.set _Z18vector_test_kernelI15HIP_vector_typeIjLj1EELj1ELj16EEvPT_S3_.numbered_sgpr, 5
	.set _Z18vector_test_kernelI15HIP_vector_typeIjLj1EELj1ELj16EEvPT_S3_.num_named_barrier, 0
	.set _Z18vector_test_kernelI15HIP_vector_typeIjLj1EELj1ELj16EEvPT_S3_.private_seg_size, 0
	.set _Z18vector_test_kernelI15HIP_vector_typeIjLj1EELj1ELj16EEvPT_S3_.uses_vcc, 0
	.set _Z18vector_test_kernelI15HIP_vector_typeIjLj1EELj1ELj16EEvPT_S3_.uses_flat_scratch, 0
	.set _Z18vector_test_kernelI15HIP_vector_typeIjLj1EELj1ELj16EEvPT_S3_.has_dyn_sized_stack, 0
	.set _Z18vector_test_kernelI15HIP_vector_typeIjLj1EELj1ELj16EEvPT_S3_.has_recursion, 0
	.set _Z18vector_test_kernelI15HIP_vector_typeIjLj1EELj1ELj16EEvPT_S3_.has_indirect_call, 0
	.section	.AMDGPU.csdata,"",@progbits
; Kernel info:
; codeLenInByte = 80
; TotalNumSgprs: 5
; NumVgprs: 2
; ScratchSize: 0
; MemoryBound: 0
; FloatMode: 240
; IeeeMode: 1
; LDSByteSize: 0 bytes/workgroup (compile time only)
; SGPRBlocks: 0
; VGPRBlocks: 0
; NumSGPRsForWavesPerEU: 5
; NumVGPRsForWavesPerEU: 2
; NamedBarCnt: 0
; Occupancy: 16
; WaveLimiterHint : 0
; COMPUTE_PGM_RSRC2:SCRATCH_EN: 0
; COMPUTE_PGM_RSRC2:USER_SGPR: 2
; COMPUTE_PGM_RSRC2:TRAP_HANDLER: 0
; COMPUTE_PGM_RSRC2:TGID_X_EN: 1
; COMPUTE_PGM_RSRC2:TGID_Y_EN: 0
; COMPUTE_PGM_RSRC2:TGID_Z_EN: 0
; COMPUTE_PGM_RSRC2:TIDIG_COMP_CNT: 0
	.section	.text._Z18vector_test_kernelI15HIP_vector_typeIiLj1EELj1ELj16EEvPT_S3_,"axG",@progbits,_Z18vector_test_kernelI15HIP_vector_typeIiLj1EELj1ELj16EEvPT_S3_,comdat
	.protected	_Z18vector_test_kernelI15HIP_vector_typeIiLj1EELj1ELj16EEvPT_S3_ ; -- Begin function _Z18vector_test_kernelI15HIP_vector_typeIiLj1EELj1ELj16EEvPT_S3_
	.globl	_Z18vector_test_kernelI15HIP_vector_typeIiLj1EELj1ELj16EEvPT_S3_
	.p2align	8
	.type	_Z18vector_test_kernelI15HIP_vector_typeIiLj1EELj1ELj16EEvPT_S3_,@function
_Z18vector_test_kernelI15HIP_vector_typeIiLj1EELj1ELj16EEvPT_S3_: ; @_Z18vector_test_kernelI15HIP_vector_typeIiLj1EELj1ELj16EEvPT_S3_
; %bb.0:
	s_load_b64 s[0:1], s[0:1], 0x8
	s_bfe_u32 s2, ttmp6, 0x4000c
	s_and_b32 s3, ttmp6, 15
	s_add_co_i32 s2, s2, 1
	s_getreg_b32 s4, hwreg(HW_REG_IB_STS2, 6, 4)
	s_mul_i32 s2, ttmp9, s2
	v_mov_b32_e32 v1, 0
	s_add_co_i32 s3, s3, s2
	s_cmp_eq_u32 s4, 0
	s_cselect_b32 s2, ttmp9, s3
	s_delay_alu instid0(SALU_CYCLE_1)
	v_lshl_add_u32 v0, s2, 4, v0
	s_wait_kmcnt 0x0
	global_store_b32 v0, v1, s[0:1] scale_offset
	s_endpgm
	.section	.rodata,"a",@progbits
	.p2align	6, 0x0
	.amdhsa_kernel _Z18vector_test_kernelI15HIP_vector_typeIiLj1EELj1ELj16EEvPT_S3_
		.amdhsa_group_segment_fixed_size 0
		.amdhsa_private_segment_fixed_size 0
		.amdhsa_kernarg_size 16
		.amdhsa_user_sgpr_count 2
		.amdhsa_user_sgpr_dispatch_ptr 0
		.amdhsa_user_sgpr_queue_ptr 0
		.amdhsa_user_sgpr_kernarg_segment_ptr 1
		.amdhsa_user_sgpr_dispatch_id 0
		.amdhsa_user_sgpr_kernarg_preload_length 0
		.amdhsa_user_sgpr_kernarg_preload_offset 0
		.amdhsa_user_sgpr_private_segment_size 0
		.amdhsa_wavefront_size32 1
		.amdhsa_uses_dynamic_stack 0
		.amdhsa_enable_private_segment 0
		.amdhsa_system_sgpr_workgroup_id_x 1
		.amdhsa_system_sgpr_workgroup_id_y 0
		.amdhsa_system_sgpr_workgroup_id_z 0
		.amdhsa_system_sgpr_workgroup_info 0
		.amdhsa_system_vgpr_workitem_id 0
		.amdhsa_next_free_vgpr 2
		.amdhsa_next_free_sgpr 5
		.amdhsa_named_barrier_count 0
		.amdhsa_reserve_vcc 0
		.amdhsa_float_round_mode_32 0
		.amdhsa_float_round_mode_16_64 0
		.amdhsa_float_denorm_mode_32 3
		.amdhsa_float_denorm_mode_16_64 3
		.amdhsa_fp16_overflow 0
		.amdhsa_memory_ordered 1
		.amdhsa_forward_progress 1
		.amdhsa_inst_pref_size 1
		.amdhsa_round_robin_scheduling 0
		.amdhsa_exception_fp_ieee_invalid_op 0
		.amdhsa_exception_fp_denorm_src 0
		.amdhsa_exception_fp_ieee_div_zero 0
		.amdhsa_exception_fp_ieee_overflow 0
		.amdhsa_exception_fp_ieee_underflow 0
		.amdhsa_exception_fp_ieee_inexact 0
		.amdhsa_exception_int_div_zero 0
	.end_amdhsa_kernel
	.section	.text._Z18vector_test_kernelI15HIP_vector_typeIiLj1EELj1ELj16EEvPT_S3_,"axG",@progbits,_Z18vector_test_kernelI15HIP_vector_typeIiLj1EELj1ELj16EEvPT_S3_,comdat
.Lfunc_end8:
	.size	_Z18vector_test_kernelI15HIP_vector_typeIiLj1EELj1ELj16EEvPT_S3_, .Lfunc_end8-_Z18vector_test_kernelI15HIP_vector_typeIiLj1EELj1ELj16EEvPT_S3_
                                        ; -- End function
	.set _Z18vector_test_kernelI15HIP_vector_typeIiLj1EELj1ELj16EEvPT_S3_.num_vgpr, 2
	.set _Z18vector_test_kernelI15HIP_vector_typeIiLj1EELj1ELj16EEvPT_S3_.num_agpr, 0
	.set _Z18vector_test_kernelI15HIP_vector_typeIiLj1EELj1ELj16EEvPT_S3_.numbered_sgpr, 5
	.set _Z18vector_test_kernelI15HIP_vector_typeIiLj1EELj1ELj16EEvPT_S3_.num_named_barrier, 0
	.set _Z18vector_test_kernelI15HIP_vector_typeIiLj1EELj1ELj16EEvPT_S3_.private_seg_size, 0
	.set _Z18vector_test_kernelI15HIP_vector_typeIiLj1EELj1ELj16EEvPT_S3_.uses_vcc, 0
	.set _Z18vector_test_kernelI15HIP_vector_typeIiLj1EELj1ELj16EEvPT_S3_.uses_flat_scratch, 0
	.set _Z18vector_test_kernelI15HIP_vector_typeIiLj1EELj1ELj16EEvPT_S3_.has_dyn_sized_stack, 0
	.set _Z18vector_test_kernelI15HIP_vector_typeIiLj1EELj1ELj16EEvPT_S3_.has_recursion, 0
	.set _Z18vector_test_kernelI15HIP_vector_typeIiLj1EELj1ELj16EEvPT_S3_.has_indirect_call, 0
	.section	.AMDGPU.csdata,"",@progbits
; Kernel info:
; codeLenInByte = 80
; TotalNumSgprs: 5
; NumVgprs: 2
; ScratchSize: 0
; MemoryBound: 0
; FloatMode: 240
; IeeeMode: 1
; LDSByteSize: 0 bytes/workgroup (compile time only)
; SGPRBlocks: 0
; VGPRBlocks: 0
; NumSGPRsForWavesPerEU: 5
; NumVGPRsForWavesPerEU: 2
; NamedBarCnt: 0
; Occupancy: 16
; WaveLimiterHint : 0
; COMPUTE_PGM_RSRC2:SCRATCH_EN: 0
; COMPUTE_PGM_RSRC2:USER_SGPR: 2
; COMPUTE_PGM_RSRC2:TRAP_HANDLER: 0
; COMPUTE_PGM_RSRC2:TGID_X_EN: 1
; COMPUTE_PGM_RSRC2:TGID_Y_EN: 0
; COMPUTE_PGM_RSRC2:TGID_Z_EN: 0
; COMPUTE_PGM_RSRC2:TIDIG_COMP_CNT: 0
	.section	.text._Z18vector_test_kernelI15HIP_vector_typeItLj1EELj1ELj16EEvPT_S3_,"axG",@progbits,_Z18vector_test_kernelI15HIP_vector_typeItLj1EELj1ELj16EEvPT_S3_,comdat
	.protected	_Z18vector_test_kernelI15HIP_vector_typeItLj1EELj1ELj16EEvPT_S3_ ; -- Begin function _Z18vector_test_kernelI15HIP_vector_typeItLj1EELj1ELj16EEvPT_S3_
	.globl	_Z18vector_test_kernelI15HIP_vector_typeItLj1EELj1ELj16EEvPT_S3_
	.p2align	8
	.type	_Z18vector_test_kernelI15HIP_vector_typeItLj1EELj1ELj16EEvPT_S3_,@function
_Z18vector_test_kernelI15HIP_vector_typeItLj1EELj1ELj16EEvPT_S3_: ; @_Z18vector_test_kernelI15HIP_vector_typeItLj1EELj1ELj16EEvPT_S3_
; %bb.0:
	s_load_b64 s[0:1], s[0:1], 0x8
	s_bfe_u32 s2, ttmp6, 0x4000c
	s_and_b32 s3, ttmp6, 15
	s_add_co_i32 s2, s2, 1
	s_getreg_b32 s4, hwreg(HW_REG_IB_STS2, 6, 4)
	s_mul_i32 s2, ttmp9, s2
	v_mov_b32_e32 v1, 0
	s_add_co_i32 s3, s3, s2
	s_cmp_eq_u32 s4, 0
	s_cselect_b32 s2, ttmp9, s3
	s_delay_alu instid0(SALU_CYCLE_1)
	v_lshl_add_u32 v0, s2, 4, v0
	s_wait_kmcnt 0x0
	global_store_b16 v0, v1, s[0:1] scale_offset
	s_endpgm
	.section	.rodata,"a",@progbits
	.p2align	6, 0x0
	.amdhsa_kernel _Z18vector_test_kernelI15HIP_vector_typeItLj1EELj1ELj16EEvPT_S3_
		.amdhsa_group_segment_fixed_size 0
		.amdhsa_private_segment_fixed_size 0
		.amdhsa_kernarg_size 16
		.amdhsa_user_sgpr_count 2
		.amdhsa_user_sgpr_dispatch_ptr 0
		.amdhsa_user_sgpr_queue_ptr 0
		.amdhsa_user_sgpr_kernarg_segment_ptr 1
		.amdhsa_user_sgpr_dispatch_id 0
		.amdhsa_user_sgpr_kernarg_preload_length 0
		.amdhsa_user_sgpr_kernarg_preload_offset 0
		.amdhsa_user_sgpr_private_segment_size 0
		.amdhsa_wavefront_size32 1
		.amdhsa_uses_dynamic_stack 0
		.amdhsa_enable_private_segment 0
		.amdhsa_system_sgpr_workgroup_id_x 1
		.amdhsa_system_sgpr_workgroup_id_y 0
		.amdhsa_system_sgpr_workgroup_id_z 0
		.amdhsa_system_sgpr_workgroup_info 0
		.amdhsa_system_vgpr_workitem_id 0
		.amdhsa_next_free_vgpr 2
		.amdhsa_next_free_sgpr 5
		.amdhsa_named_barrier_count 0
		.amdhsa_reserve_vcc 0
		.amdhsa_float_round_mode_32 0
		.amdhsa_float_round_mode_16_64 0
		.amdhsa_float_denorm_mode_32 3
		.amdhsa_float_denorm_mode_16_64 3
		.amdhsa_fp16_overflow 0
		.amdhsa_memory_ordered 1
		.amdhsa_forward_progress 1
		.amdhsa_inst_pref_size 1
		.amdhsa_round_robin_scheduling 0
		.amdhsa_exception_fp_ieee_invalid_op 0
		.amdhsa_exception_fp_denorm_src 0
		.amdhsa_exception_fp_ieee_div_zero 0
		.amdhsa_exception_fp_ieee_overflow 0
		.amdhsa_exception_fp_ieee_underflow 0
		.amdhsa_exception_fp_ieee_inexact 0
		.amdhsa_exception_int_div_zero 0
	.end_amdhsa_kernel
	.section	.text._Z18vector_test_kernelI15HIP_vector_typeItLj1EELj1ELj16EEvPT_S3_,"axG",@progbits,_Z18vector_test_kernelI15HIP_vector_typeItLj1EELj1ELj16EEvPT_S3_,comdat
.Lfunc_end9:
	.size	_Z18vector_test_kernelI15HIP_vector_typeItLj1EELj1ELj16EEvPT_S3_, .Lfunc_end9-_Z18vector_test_kernelI15HIP_vector_typeItLj1EELj1ELj16EEvPT_S3_
                                        ; -- End function
	.set _Z18vector_test_kernelI15HIP_vector_typeItLj1EELj1ELj16EEvPT_S3_.num_vgpr, 2
	.set _Z18vector_test_kernelI15HIP_vector_typeItLj1EELj1ELj16EEvPT_S3_.num_agpr, 0
	.set _Z18vector_test_kernelI15HIP_vector_typeItLj1EELj1ELj16EEvPT_S3_.numbered_sgpr, 5
	.set _Z18vector_test_kernelI15HIP_vector_typeItLj1EELj1ELj16EEvPT_S3_.num_named_barrier, 0
	.set _Z18vector_test_kernelI15HIP_vector_typeItLj1EELj1ELj16EEvPT_S3_.private_seg_size, 0
	.set _Z18vector_test_kernelI15HIP_vector_typeItLj1EELj1ELj16EEvPT_S3_.uses_vcc, 0
	.set _Z18vector_test_kernelI15HIP_vector_typeItLj1EELj1ELj16EEvPT_S3_.uses_flat_scratch, 0
	.set _Z18vector_test_kernelI15HIP_vector_typeItLj1EELj1ELj16EEvPT_S3_.has_dyn_sized_stack, 0
	.set _Z18vector_test_kernelI15HIP_vector_typeItLj1EELj1ELj16EEvPT_S3_.has_recursion, 0
	.set _Z18vector_test_kernelI15HIP_vector_typeItLj1EELj1ELj16EEvPT_S3_.has_indirect_call, 0
	.section	.AMDGPU.csdata,"",@progbits
; Kernel info:
; codeLenInByte = 80
; TotalNumSgprs: 5
; NumVgprs: 2
; ScratchSize: 0
; MemoryBound: 0
; FloatMode: 240
; IeeeMode: 1
; LDSByteSize: 0 bytes/workgroup (compile time only)
; SGPRBlocks: 0
; VGPRBlocks: 0
; NumSGPRsForWavesPerEU: 5
; NumVGPRsForWavesPerEU: 2
; NamedBarCnt: 0
; Occupancy: 16
; WaveLimiterHint : 0
; COMPUTE_PGM_RSRC2:SCRATCH_EN: 0
; COMPUTE_PGM_RSRC2:USER_SGPR: 2
; COMPUTE_PGM_RSRC2:TRAP_HANDLER: 0
; COMPUTE_PGM_RSRC2:TGID_X_EN: 1
; COMPUTE_PGM_RSRC2:TGID_Y_EN: 0
; COMPUTE_PGM_RSRC2:TGID_Z_EN: 0
; COMPUTE_PGM_RSRC2:TIDIG_COMP_CNT: 0
	.section	.text._Z18vector_test_kernelI15HIP_vector_typeIsLj1EELj1ELj16EEvPT_S3_,"axG",@progbits,_Z18vector_test_kernelI15HIP_vector_typeIsLj1EELj1ELj16EEvPT_S3_,comdat
	.protected	_Z18vector_test_kernelI15HIP_vector_typeIsLj1EELj1ELj16EEvPT_S3_ ; -- Begin function _Z18vector_test_kernelI15HIP_vector_typeIsLj1EELj1ELj16EEvPT_S3_
	.globl	_Z18vector_test_kernelI15HIP_vector_typeIsLj1EELj1ELj16EEvPT_S3_
	.p2align	8
	.type	_Z18vector_test_kernelI15HIP_vector_typeIsLj1EELj1ELj16EEvPT_S3_,@function
_Z18vector_test_kernelI15HIP_vector_typeIsLj1EELj1ELj16EEvPT_S3_: ; @_Z18vector_test_kernelI15HIP_vector_typeIsLj1EELj1ELj16EEvPT_S3_
; %bb.0:
	s_load_b64 s[0:1], s[0:1], 0x8
	s_bfe_u32 s2, ttmp6, 0x4000c
	s_and_b32 s3, ttmp6, 15
	s_add_co_i32 s2, s2, 1
	s_getreg_b32 s4, hwreg(HW_REG_IB_STS2, 6, 4)
	s_mul_i32 s2, ttmp9, s2
	v_mov_b32_e32 v1, 0
	s_add_co_i32 s3, s3, s2
	s_cmp_eq_u32 s4, 0
	s_cselect_b32 s2, ttmp9, s3
	s_delay_alu instid0(SALU_CYCLE_1)
	v_lshl_add_u32 v0, s2, 4, v0
	s_wait_kmcnt 0x0
	global_store_b16 v0, v1, s[0:1] scale_offset
	s_endpgm
	.section	.rodata,"a",@progbits
	.p2align	6, 0x0
	.amdhsa_kernel _Z18vector_test_kernelI15HIP_vector_typeIsLj1EELj1ELj16EEvPT_S3_
		.amdhsa_group_segment_fixed_size 0
		.amdhsa_private_segment_fixed_size 0
		.amdhsa_kernarg_size 16
		.amdhsa_user_sgpr_count 2
		.amdhsa_user_sgpr_dispatch_ptr 0
		.amdhsa_user_sgpr_queue_ptr 0
		.amdhsa_user_sgpr_kernarg_segment_ptr 1
		.amdhsa_user_sgpr_dispatch_id 0
		.amdhsa_user_sgpr_kernarg_preload_length 0
		.amdhsa_user_sgpr_kernarg_preload_offset 0
		.amdhsa_user_sgpr_private_segment_size 0
		.amdhsa_wavefront_size32 1
		.amdhsa_uses_dynamic_stack 0
		.amdhsa_enable_private_segment 0
		.amdhsa_system_sgpr_workgroup_id_x 1
		.amdhsa_system_sgpr_workgroup_id_y 0
		.amdhsa_system_sgpr_workgroup_id_z 0
		.amdhsa_system_sgpr_workgroup_info 0
		.amdhsa_system_vgpr_workitem_id 0
		.amdhsa_next_free_vgpr 2
		.amdhsa_next_free_sgpr 5
		.amdhsa_named_barrier_count 0
		.amdhsa_reserve_vcc 0
		.amdhsa_float_round_mode_32 0
		.amdhsa_float_round_mode_16_64 0
		.amdhsa_float_denorm_mode_32 3
		.amdhsa_float_denorm_mode_16_64 3
		.amdhsa_fp16_overflow 0
		.amdhsa_memory_ordered 1
		.amdhsa_forward_progress 1
		.amdhsa_inst_pref_size 1
		.amdhsa_round_robin_scheduling 0
		.amdhsa_exception_fp_ieee_invalid_op 0
		.amdhsa_exception_fp_denorm_src 0
		.amdhsa_exception_fp_ieee_div_zero 0
		.amdhsa_exception_fp_ieee_overflow 0
		.amdhsa_exception_fp_ieee_underflow 0
		.amdhsa_exception_fp_ieee_inexact 0
		.amdhsa_exception_int_div_zero 0
	.end_amdhsa_kernel
	.section	.text._Z18vector_test_kernelI15HIP_vector_typeIsLj1EELj1ELj16EEvPT_S3_,"axG",@progbits,_Z18vector_test_kernelI15HIP_vector_typeIsLj1EELj1ELj16EEvPT_S3_,comdat
.Lfunc_end10:
	.size	_Z18vector_test_kernelI15HIP_vector_typeIsLj1EELj1ELj16EEvPT_S3_, .Lfunc_end10-_Z18vector_test_kernelI15HIP_vector_typeIsLj1EELj1ELj16EEvPT_S3_
                                        ; -- End function
	.set _Z18vector_test_kernelI15HIP_vector_typeIsLj1EELj1ELj16EEvPT_S3_.num_vgpr, 2
	.set _Z18vector_test_kernelI15HIP_vector_typeIsLj1EELj1ELj16EEvPT_S3_.num_agpr, 0
	.set _Z18vector_test_kernelI15HIP_vector_typeIsLj1EELj1ELj16EEvPT_S3_.numbered_sgpr, 5
	.set _Z18vector_test_kernelI15HIP_vector_typeIsLj1EELj1ELj16EEvPT_S3_.num_named_barrier, 0
	.set _Z18vector_test_kernelI15HIP_vector_typeIsLj1EELj1ELj16EEvPT_S3_.private_seg_size, 0
	.set _Z18vector_test_kernelI15HIP_vector_typeIsLj1EELj1ELj16EEvPT_S3_.uses_vcc, 0
	.set _Z18vector_test_kernelI15HIP_vector_typeIsLj1EELj1ELj16EEvPT_S3_.uses_flat_scratch, 0
	.set _Z18vector_test_kernelI15HIP_vector_typeIsLj1EELj1ELj16EEvPT_S3_.has_dyn_sized_stack, 0
	.set _Z18vector_test_kernelI15HIP_vector_typeIsLj1EELj1ELj16EEvPT_S3_.has_recursion, 0
	.set _Z18vector_test_kernelI15HIP_vector_typeIsLj1EELj1ELj16EEvPT_S3_.has_indirect_call, 0
	.section	.AMDGPU.csdata,"",@progbits
; Kernel info:
; codeLenInByte = 80
; TotalNumSgprs: 5
; NumVgprs: 2
; ScratchSize: 0
; MemoryBound: 0
; FloatMode: 240
; IeeeMode: 1
; LDSByteSize: 0 bytes/workgroup (compile time only)
; SGPRBlocks: 0
; VGPRBlocks: 0
; NumSGPRsForWavesPerEU: 5
; NumVGPRsForWavesPerEU: 2
; NamedBarCnt: 0
; Occupancy: 16
; WaveLimiterHint : 0
; COMPUTE_PGM_RSRC2:SCRATCH_EN: 0
; COMPUTE_PGM_RSRC2:USER_SGPR: 2
; COMPUTE_PGM_RSRC2:TRAP_HANDLER: 0
; COMPUTE_PGM_RSRC2:TGID_X_EN: 1
; COMPUTE_PGM_RSRC2:TGID_Y_EN: 0
; COMPUTE_PGM_RSRC2:TGID_Z_EN: 0
; COMPUTE_PGM_RSRC2:TIDIG_COMP_CNT: 0
	.section	.text._Z18vector_test_kernelI15HIP_vector_typeIcLj1EELj1ELj16EEvPT_S3_,"axG",@progbits,_Z18vector_test_kernelI15HIP_vector_typeIcLj1EELj1ELj16EEvPT_S3_,comdat
	.protected	_Z18vector_test_kernelI15HIP_vector_typeIcLj1EELj1ELj16EEvPT_S3_ ; -- Begin function _Z18vector_test_kernelI15HIP_vector_typeIcLj1EELj1ELj16EEvPT_S3_
	.globl	_Z18vector_test_kernelI15HIP_vector_typeIcLj1EELj1ELj16EEvPT_S3_
	.p2align	8
	.type	_Z18vector_test_kernelI15HIP_vector_typeIcLj1EELj1ELj16EEvPT_S3_,@function
_Z18vector_test_kernelI15HIP_vector_typeIcLj1EELj1ELj16EEvPT_S3_: ; @_Z18vector_test_kernelI15HIP_vector_typeIcLj1EELj1ELj16EEvPT_S3_
; %bb.0:
	s_load_b64 s[0:1], s[0:1], 0x8
	s_bfe_u32 s2, ttmp6, 0x4000c
	s_and_b32 s3, ttmp6, 15
	s_add_co_i32 s2, s2, 1
	s_getreg_b32 s4, hwreg(HW_REG_IB_STS2, 6, 4)
	s_mul_i32 s2, ttmp9, s2
	v_mov_b32_e32 v1, 0
	s_add_co_i32 s3, s3, s2
	s_cmp_eq_u32 s4, 0
	s_cselect_b32 s2, ttmp9, s3
	s_delay_alu instid0(SALU_CYCLE_1)
	v_lshl_add_u32 v0, s2, 4, v0
	s_wait_kmcnt 0x0
	global_store_b8 v0, v1, s[0:1]
	s_endpgm
	.section	.rodata,"a",@progbits
	.p2align	6, 0x0
	.amdhsa_kernel _Z18vector_test_kernelI15HIP_vector_typeIcLj1EELj1ELj16EEvPT_S3_
		.amdhsa_group_segment_fixed_size 0
		.amdhsa_private_segment_fixed_size 0
		.amdhsa_kernarg_size 16
		.amdhsa_user_sgpr_count 2
		.amdhsa_user_sgpr_dispatch_ptr 0
		.amdhsa_user_sgpr_queue_ptr 0
		.amdhsa_user_sgpr_kernarg_segment_ptr 1
		.amdhsa_user_sgpr_dispatch_id 0
		.amdhsa_user_sgpr_kernarg_preload_length 0
		.amdhsa_user_sgpr_kernarg_preload_offset 0
		.amdhsa_user_sgpr_private_segment_size 0
		.amdhsa_wavefront_size32 1
		.amdhsa_uses_dynamic_stack 0
		.amdhsa_enable_private_segment 0
		.amdhsa_system_sgpr_workgroup_id_x 1
		.amdhsa_system_sgpr_workgroup_id_y 0
		.amdhsa_system_sgpr_workgroup_id_z 0
		.amdhsa_system_sgpr_workgroup_info 0
		.amdhsa_system_vgpr_workitem_id 0
		.amdhsa_next_free_vgpr 2
		.amdhsa_next_free_sgpr 5
		.amdhsa_named_barrier_count 0
		.amdhsa_reserve_vcc 0
		.amdhsa_float_round_mode_32 0
		.amdhsa_float_round_mode_16_64 0
		.amdhsa_float_denorm_mode_32 3
		.amdhsa_float_denorm_mode_16_64 3
		.amdhsa_fp16_overflow 0
		.amdhsa_memory_ordered 1
		.amdhsa_forward_progress 1
		.amdhsa_inst_pref_size 1
		.amdhsa_round_robin_scheduling 0
		.amdhsa_exception_fp_ieee_invalid_op 0
		.amdhsa_exception_fp_denorm_src 0
		.amdhsa_exception_fp_ieee_div_zero 0
		.amdhsa_exception_fp_ieee_overflow 0
		.amdhsa_exception_fp_ieee_underflow 0
		.amdhsa_exception_fp_ieee_inexact 0
		.amdhsa_exception_int_div_zero 0
	.end_amdhsa_kernel
	.section	.text._Z18vector_test_kernelI15HIP_vector_typeIcLj1EELj1ELj16EEvPT_S3_,"axG",@progbits,_Z18vector_test_kernelI15HIP_vector_typeIcLj1EELj1ELj16EEvPT_S3_,comdat
.Lfunc_end11:
	.size	_Z18vector_test_kernelI15HIP_vector_typeIcLj1EELj1ELj16EEvPT_S3_, .Lfunc_end11-_Z18vector_test_kernelI15HIP_vector_typeIcLj1EELj1ELj16EEvPT_S3_
                                        ; -- End function
	.set _Z18vector_test_kernelI15HIP_vector_typeIcLj1EELj1ELj16EEvPT_S3_.num_vgpr, 2
	.set _Z18vector_test_kernelI15HIP_vector_typeIcLj1EELj1ELj16EEvPT_S3_.num_agpr, 0
	.set _Z18vector_test_kernelI15HIP_vector_typeIcLj1EELj1ELj16EEvPT_S3_.numbered_sgpr, 5
	.set _Z18vector_test_kernelI15HIP_vector_typeIcLj1EELj1ELj16EEvPT_S3_.num_named_barrier, 0
	.set _Z18vector_test_kernelI15HIP_vector_typeIcLj1EELj1ELj16EEvPT_S3_.private_seg_size, 0
	.set _Z18vector_test_kernelI15HIP_vector_typeIcLj1EELj1ELj16EEvPT_S3_.uses_vcc, 0
	.set _Z18vector_test_kernelI15HIP_vector_typeIcLj1EELj1ELj16EEvPT_S3_.uses_flat_scratch, 0
	.set _Z18vector_test_kernelI15HIP_vector_typeIcLj1EELj1ELj16EEvPT_S3_.has_dyn_sized_stack, 0
	.set _Z18vector_test_kernelI15HIP_vector_typeIcLj1EELj1ELj16EEvPT_S3_.has_recursion, 0
	.set _Z18vector_test_kernelI15HIP_vector_typeIcLj1EELj1ELj16EEvPT_S3_.has_indirect_call, 0
	.section	.AMDGPU.csdata,"",@progbits
; Kernel info:
; codeLenInByte = 80
; TotalNumSgprs: 5
; NumVgprs: 2
; ScratchSize: 0
; MemoryBound: 0
; FloatMode: 240
; IeeeMode: 1
; LDSByteSize: 0 bytes/workgroup (compile time only)
; SGPRBlocks: 0
; VGPRBlocks: 0
; NumSGPRsForWavesPerEU: 5
; NumVGPRsForWavesPerEU: 2
; NamedBarCnt: 0
; Occupancy: 16
; WaveLimiterHint : 0
; COMPUTE_PGM_RSRC2:SCRATCH_EN: 0
; COMPUTE_PGM_RSRC2:USER_SGPR: 2
; COMPUTE_PGM_RSRC2:TRAP_HANDLER: 0
; COMPUTE_PGM_RSRC2:TGID_X_EN: 1
; COMPUTE_PGM_RSRC2:TGID_Y_EN: 0
; COMPUTE_PGM_RSRC2:TGID_Z_EN: 0
; COMPUTE_PGM_RSRC2:TIDIG_COMP_CNT: 0
	.section	.text._Z18vector_test_kernelI15HIP_vector_typeIhLj2EELj2ELj16EEvPT_S3_,"axG",@progbits,_Z18vector_test_kernelI15HIP_vector_typeIhLj2EELj2ELj16EEvPT_S3_,comdat
	.protected	_Z18vector_test_kernelI15HIP_vector_typeIhLj2EELj2ELj16EEvPT_S3_ ; -- Begin function _Z18vector_test_kernelI15HIP_vector_typeIhLj2EELj2ELj16EEvPT_S3_
	.globl	_Z18vector_test_kernelI15HIP_vector_typeIhLj2EELj2ELj16EEvPT_S3_
	.p2align	8
	.type	_Z18vector_test_kernelI15HIP_vector_typeIhLj2EELj2ELj16EEvPT_S3_,@function
_Z18vector_test_kernelI15HIP_vector_typeIhLj2EELj2ELj16EEvPT_S3_: ; @_Z18vector_test_kernelI15HIP_vector_typeIhLj2EELj2ELj16EEvPT_S3_
; %bb.0:
	s_load_b64 s[0:1], s[0:1], 0x8
	s_bfe_u32 s2, ttmp6, 0x4000c
	s_and_b32 s3, ttmp6, 15
	s_add_co_i32 s2, s2, 1
	s_getreg_b32 s4, hwreg(HW_REG_IB_STS2, 6, 4)
	s_mul_i32 s2, ttmp9, s2
	v_mov_b32_e32 v1, 0
	s_add_co_i32 s3, s3, s2
	s_cmp_eq_u32 s4, 0
	s_cselect_b32 s2, ttmp9, s3
	s_delay_alu instid0(SALU_CYCLE_1)
	v_lshl_add_u32 v0, s2, 4, v0
	s_wait_kmcnt 0x0
	global_store_b16 v0, v1, s[0:1] scale_offset
	s_endpgm
	.section	.rodata,"a",@progbits
	.p2align	6, 0x0
	.amdhsa_kernel _Z18vector_test_kernelI15HIP_vector_typeIhLj2EELj2ELj16EEvPT_S3_
		.amdhsa_group_segment_fixed_size 0
		.amdhsa_private_segment_fixed_size 0
		.amdhsa_kernarg_size 16
		.amdhsa_user_sgpr_count 2
		.amdhsa_user_sgpr_dispatch_ptr 0
		.amdhsa_user_sgpr_queue_ptr 0
		.amdhsa_user_sgpr_kernarg_segment_ptr 1
		.amdhsa_user_sgpr_dispatch_id 0
		.amdhsa_user_sgpr_kernarg_preload_length 0
		.amdhsa_user_sgpr_kernarg_preload_offset 0
		.amdhsa_user_sgpr_private_segment_size 0
		.amdhsa_wavefront_size32 1
		.amdhsa_uses_dynamic_stack 0
		.amdhsa_enable_private_segment 0
		.amdhsa_system_sgpr_workgroup_id_x 1
		.amdhsa_system_sgpr_workgroup_id_y 0
		.amdhsa_system_sgpr_workgroup_id_z 0
		.amdhsa_system_sgpr_workgroup_info 0
		.amdhsa_system_vgpr_workitem_id 0
		.amdhsa_next_free_vgpr 2
		.amdhsa_next_free_sgpr 5
		.amdhsa_named_barrier_count 0
		.amdhsa_reserve_vcc 0
		.amdhsa_float_round_mode_32 0
		.amdhsa_float_round_mode_16_64 0
		.amdhsa_float_denorm_mode_32 3
		.amdhsa_float_denorm_mode_16_64 3
		.amdhsa_fp16_overflow 0
		.amdhsa_memory_ordered 1
		.amdhsa_forward_progress 1
		.amdhsa_inst_pref_size 1
		.amdhsa_round_robin_scheduling 0
		.amdhsa_exception_fp_ieee_invalid_op 0
		.amdhsa_exception_fp_denorm_src 0
		.amdhsa_exception_fp_ieee_div_zero 0
		.amdhsa_exception_fp_ieee_overflow 0
		.amdhsa_exception_fp_ieee_underflow 0
		.amdhsa_exception_fp_ieee_inexact 0
		.amdhsa_exception_int_div_zero 0
	.end_amdhsa_kernel
	.section	.text._Z18vector_test_kernelI15HIP_vector_typeIhLj2EELj2ELj16EEvPT_S3_,"axG",@progbits,_Z18vector_test_kernelI15HIP_vector_typeIhLj2EELj2ELj16EEvPT_S3_,comdat
.Lfunc_end12:
	.size	_Z18vector_test_kernelI15HIP_vector_typeIhLj2EELj2ELj16EEvPT_S3_, .Lfunc_end12-_Z18vector_test_kernelI15HIP_vector_typeIhLj2EELj2ELj16EEvPT_S3_
                                        ; -- End function
	.set _Z18vector_test_kernelI15HIP_vector_typeIhLj2EELj2ELj16EEvPT_S3_.num_vgpr, 2
	.set _Z18vector_test_kernelI15HIP_vector_typeIhLj2EELj2ELj16EEvPT_S3_.num_agpr, 0
	.set _Z18vector_test_kernelI15HIP_vector_typeIhLj2EELj2ELj16EEvPT_S3_.numbered_sgpr, 5
	.set _Z18vector_test_kernelI15HIP_vector_typeIhLj2EELj2ELj16EEvPT_S3_.num_named_barrier, 0
	.set _Z18vector_test_kernelI15HIP_vector_typeIhLj2EELj2ELj16EEvPT_S3_.private_seg_size, 0
	.set _Z18vector_test_kernelI15HIP_vector_typeIhLj2EELj2ELj16EEvPT_S3_.uses_vcc, 0
	.set _Z18vector_test_kernelI15HIP_vector_typeIhLj2EELj2ELj16EEvPT_S3_.uses_flat_scratch, 0
	.set _Z18vector_test_kernelI15HIP_vector_typeIhLj2EELj2ELj16EEvPT_S3_.has_dyn_sized_stack, 0
	.set _Z18vector_test_kernelI15HIP_vector_typeIhLj2EELj2ELj16EEvPT_S3_.has_recursion, 0
	.set _Z18vector_test_kernelI15HIP_vector_typeIhLj2EELj2ELj16EEvPT_S3_.has_indirect_call, 0
	.section	.AMDGPU.csdata,"",@progbits
; Kernel info:
; codeLenInByte = 80
; TotalNumSgprs: 5
; NumVgprs: 2
; ScratchSize: 0
; MemoryBound: 0
; FloatMode: 240
; IeeeMode: 1
; LDSByteSize: 0 bytes/workgroup (compile time only)
; SGPRBlocks: 0
; VGPRBlocks: 0
; NumSGPRsForWavesPerEU: 5
; NumVGPRsForWavesPerEU: 2
; NamedBarCnt: 0
; Occupancy: 16
; WaveLimiterHint : 0
; COMPUTE_PGM_RSRC2:SCRATCH_EN: 0
; COMPUTE_PGM_RSRC2:USER_SGPR: 2
; COMPUTE_PGM_RSRC2:TRAP_HANDLER: 0
; COMPUTE_PGM_RSRC2:TGID_X_EN: 1
; COMPUTE_PGM_RSRC2:TGID_Y_EN: 0
; COMPUTE_PGM_RSRC2:TGID_Z_EN: 0
; COMPUTE_PGM_RSRC2:TIDIG_COMP_CNT: 0
	.section	.text._Z18vector_test_kernelI15HIP_vector_typeIdLj2EELj2ELj16EEvPT_S3_,"axG",@progbits,_Z18vector_test_kernelI15HIP_vector_typeIdLj2EELj2ELj16EEvPT_S3_,comdat
	.protected	_Z18vector_test_kernelI15HIP_vector_typeIdLj2EELj2ELj16EEvPT_S3_ ; -- Begin function _Z18vector_test_kernelI15HIP_vector_typeIdLj2EELj2ELj16EEvPT_S3_
	.globl	_Z18vector_test_kernelI15HIP_vector_typeIdLj2EELj2ELj16EEvPT_S3_
	.p2align	8
	.type	_Z18vector_test_kernelI15HIP_vector_typeIdLj2EELj2ELj16EEvPT_S3_,@function
_Z18vector_test_kernelI15HIP_vector_typeIdLj2EELj2ELj16EEvPT_S3_: ; @_Z18vector_test_kernelI15HIP_vector_typeIdLj2EELj2ELj16EEvPT_S3_
; %bb.0:
	s_load_b128 s[0:3], s[0:1], 0x0
	s_bfe_u32 s4, ttmp6, 0x4000c
	s_and_b32 s5, ttmp6, 15
	s_add_co_i32 s4, s4, 1
	s_getreg_b32 s6, hwreg(HW_REG_IB_STS2, 6, 4)
	s_mul_i32 s4, ttmp9, s4
	s_delay_alu instid0(SALU_CYCLE_1) | instskip(SKIP_2) | instid1(SALU_CYCLE_1)
	s_add_co_i32 s5, s5, s4
	s_cmp_eq_u32 s6, 0
	s_cselect_b32 s4, ttmp9, s5
	v_lshl_add_u32 v4, s4, 4, v0
	s_wait_kmcnt 0x0
	global_load_b128 v[0:3], v4, s[0:1] scale_offset
	s_wait_loadcnt 0x0
	v_add_f64_e64 v[2:3], v[2:3], -v[2:3]
	v_add_f64_e64 v[0:1], v[0:1], -v[0:1]
	global_store_b128 v4, v[0:3], s[2:3] scale_offset
	s_endpgm
	.section	.rodata,"a",@progbits
	.p2align	6, 0x0
	.amdhsa_kernel _Z18vector_test_kernelI15HIP_vector_typeIdLj2EELj2ELj16EEvPT_S3_
		.amdhsa_group_segment_fixed_size 0
		.amdhsa_private_segment_fixed_size 0
		.amdhsa_kernarg_size 16
		.amdhsa_user_sgpr_count 2
		.amdhsa_user_sgpr_dispatch_ptr 0
		.amdhsa_user_sgpr_queue_ptr 0
		.amdhsa_user_sgpr_kernarg_segment_ptr 1
		.amdhsa_user_sgpr_dispatch_id 0
		.amdhsa_user_sgpr_kernarg_preload_length 0
		.amdhsa_user_sgpr_kernarg_preload_offset 0
		.amdhsa_user_sgpr_private_segment_size 0
		.amdhsa_wavefront_size32 1
		.amdhsa_uses_dynamic_stack 0
		.amdhsa_enable_private_segment 0
		.amdhsa_system_sgpr_workgroup_id_x 1
		.amdhsa_system_sgpr_workgroup_id_y 0
		.amdhsa_system_sgpr_workgroup_id_z 0
		.amdhsa_system_sgpr_workgroup_info 0
		.amdhsa_system_vgpr_workitem_id 0
		.amdhsa_next_free_vgpr 5
		.amdhsa_next_free_sgpr 7
		.amdhsa_named_barrier_count 0
		.amdhsa_reserve_vcc 0
		.amdhsa_float_round_mode_32 0
		.amdhsa_float_round_mode_16_64 0
		.amdhsa_float_denorm_mode_32 3
		.amdhsa_float_denorm_mode_16_64 3
		.amdhsa_fp16_overflow 0
		.amdhsa_memory_ordered 1
		.amdhsa_forward_progress 1
		.amdhsa_inst_pref_size 1
		.amdhsa_round_robin_scheduling 0
		.amdhsa_exception_fp_ieee_invalid_op 0
		.amdhsa_exception_fp_denorm_src 0
		.amdhsa_exception_fp_ieee_div_zero 0
		.amdhsa_exception_fp_ieee_overflow 0
		.amdhsa_exception_fp_ieee_underflow 0
		.amdhsa_exception_fp_ieee_inexact 0
		.amdhsa_exception_int_div_zero 0
	.end_amdhsa_kernel
	.section	.text._Z18vector_test_kernelI15HIP_vector_typeIdLj2EELj2ELj16EEvPT_S3_,"axG",@progbits,_Z18vector_test_kernelI15HIP_vector_typeIdLj2EELj2ELj16EEvPT_S3_,comdat
.Lfunc_end13:
	.size	_Z18vector_test_kernelI15HIP_vector_typeIdLj2EELj2ELj16EEvPT_S3_, .Lfunc_end13-_Z18vector_test_kernelI15HIP_vector_typeIdLj2EELj2ELj16EEvPT_S3_
                                        ; -- End function
	.set _Z18vector_test_kernelI15HIP_vector_typeIdLj2EELj2ELj16EEvPT_S3_.num_vgpr, 5
	.set _Z18vector_test_kernelI15HIP_vector_typeIdLj2EELj2ELj16EEvPT_S3_.num_agpr, 0
	.set _Z18vector_test_kernelI15HIP_vector_typeIdLj2EELj2ELj16EEvPT_S3_.numbered_sgpr, 7
	.set _Z18vector_test_kernelI15HIP_vector_typeIdLj2EELj2ELj16EEvPT_S3_.num_named_barrier, 0
	.set _Z18vector_test_kernelI15HIP_vector_typeIdLj2EELj2ELj16EEvPT_S3_.private_seg_size, 0
	.set _Z18vector_test_kernelI15HIP_vector_typeIdLj2EELj2ELj16EEvPT_S3_.uses_vcc, 0
	.set _Z18vector_test_kernelI15HIP_vector_typeIdLj2EELj2ELj16EEvPT_S3_.uses_flat_scratch, 0
	.set _Z18vector_test_kernelI15HIP_vector_typeIdLj2EELj2ELj16EEvPT_S3_.has_dyn_sized_stack, 0
	.set _Z18vector_test_kernelI15HIP_vector_typeIdLj2EELj2ELj16EEvPT_S3_.has_recursion, 0
	.set _Z18vector_test_kernelI15HIP_vector_typeIdLj2EELj2ELj16EEvPT_S3_.has_indirect_call, 0
	.section	.AMDGPU.csdata,"",@progbits
; Kernel info:
; codeLenInByte = 108
; TotalNumSgprs: 7
; NumVgprs: 5
; ScratchSize: 0
; MemoryBound: 0
; FloatMode: 240
; IeeeMode: 1
; LDSByteSize: 0 bytes/workgroup (compile time only)
; SGPRBlocks: 0
; VGPRBlocks: 0
; NumSGPRsForWavesPerEU: 7
; NumVGPRsForWavesPerEU: 5
; NamedBarCnt: 0
; Occupancy: 16
; WaveLimiterHint : 0
; COMPUTE_PGM_RSRC2:SCRATCH_EN: 0
; COMPUTE_PGM_RSRC2:USER_SGPR: 2
; COMPUTE_PGM_RSRC2:TRAP_HANDLER: 0
; COMPUTE_PGM_RSRC2:TGID_X_EN: 1
; COMPUTE_PGM_RSRC2:TGID_Y_EN: 0
; COMPUTE_PGM_RSRC2:TGID_Z_EN: 0
; COMPUTE_PGM_RSRC2:TIDIG_COMP_CNT: 0
	.section	.text._Z18vector_test_kernelI15HIP_vector_typeIfLj2EELj2ELj16EEvPT_S3_,"axG",@progbits,_Z18vector_test_kernelI15HIP_vector_typeIfLj2EELj2ELj16EEvPT_S3_,comdat
	.protected	_Z18vector_test_kernelI15HIP_vector_typeIfLj2EELj2ELj16EEvPT_S3_ ; -- Begin function _Z18vector_test_kernelI15HIP_vector_typeIfLj2EELj2ELj16EEvPT_S3_
	.globl	_Z18vector_test_kernelI15HIP_vector_typeIfLj2EELj2ELj16EEvPT_S3_
	.p2align	8
	.type	_Z18vector_test_kernelI15HIP_vector_typeIfLj2EELj2ELj16EEvPT_S3_,@function
_Z18vector_test_kernelI15HIP_vector_typeIfLj2EELj2ELj16EEvPT_S3_: ; @_Z18vector_test_kernelI15HIP_vector_typeIfLj2EELj2ELj16EEvPT_S3_
; %bb.0:
	s_load_b128 s[0:3], s[0:1], 0x0
	s_bfe_u32 s4, ttmp6, 0x4000c
	s_and_b32 s5, ttmp6, 15
	s_add_co_i32 s4, s4, 1
	s_getreg_b32 s6, hwreg(HW_REG_IB_STS2, 6, 4)
	s_mul_i32 s4, ttmp9, s4
	s_delay_alu instid0(SALU_CYCLE_1) | instskip(SKIP_2) | instid1(SALU_CYCLE_1)
	s_add_co_i32 s5, s5, s4
	s_cmp_eq_u32 s6, 0
	s_cselect_b32 s4, ttmp9, s5
	v_lshl_add_u32 v2, s4, 4, v0
	s_wait_kmcnt 0x0
	global_load_b64 v[0:1], v2, s[0:1] scale_offset
	s_wait_loadcnt 0x0
	v_pk_add_f32 v[0:1], v[0:1], v[0:1] neg_lo:[0,1] neg_hi:[0,1]
	global_store_b64 v2, v[0:1], s[2:3] scale_offset
	s_endpgm
	.section	.rodata,"a",@progbits
	.p2align	6, 0x0
	.amdhsa_kernel _Z18vector_test_kernelI15HIP_vector_typeIfLj2EELj2ELj16EEvPT_S3_
		.amdhsa_group_segment_fixed_size 0
		.amdhsa_private_segment_fixed_size 0
		.amdhsa_kernarg_size 16
		.amdhsa_user_sgpr_count 2
		.amdhsa_user_sgpr_dispatch_ptr 0
		.amdhsa_user_sgpr_queue_ptr 0
		.amdhsa_user_sgpr_kernarg_segment_ptr 1
		.amdhsa_user_sgpr_dispatch_id 0
		.amdhsa_user_sgpr_kernarg_preload_length 0
		.amdhsa_user_sgpr_kernarg_preload_offset 0
		.amdhsa_user_sgpr_private_segment_size 0
		.amdhsa_wavefront_size32 1
		.amdhsa_uses_dynamic_stack 0
		.amdhsa_enable_private_segment 0
		.amdhsa_system_sgpr_workgroup_id_x 1
		.amdhsa_system_sgpr_workgroup_id_y 0
		.amdhsa_system_sgpr_workgroup_id_z 0
		.amdhsa_system_sgpr_workgroup_info 0
		.amdhsa_system_vgpr_workitem_id 0
		.amdhsa_next_free_vgpr 3
		.amdhsa_next_free_sgpr 7
		.amdhsa_named_barrier_count 0
		.amdhsa_reserve_vcc 0
		.amdhsa_float_round_mode_32 0
		.amdhsa_float_round_mode_16_64 0
		.amdhsa_float_denorm_mode_32 3
		.amdhsa_float_denorm_mode_16_64 3
		.amdhsa_fp16_overflow 0
		.amdhsa_memory_ordered 1
		.amdhsa_forward_progress 1
		.amdhsa_inst_pref_size 1
		.amdhsa_round_robin_scheduling 0
		.amdhsa_exception_fp_ieee_invalid_op 0
		.amdhsa_exception_fp_denorm_src 0
		.amdhsa_exception_fp_ieee_div_zero 0
		.amdhsa_exception_fp_ieee_overflow 0
		.amdhsa_exception_fp_ieee_underflow 0
		.amdhsa_exception_fp_ieee_inexact 0
		.amdhsa_exception_int_div_zero 0
	.end_amdhsa_kernel
	.section	.text._Z18vector_test_kernelI15HIP_vector_typeIfLj2EELj2ELj16EEvPT_S3_,"axG",@progbits,_Z18vector_test_kernelI15HIP_vector_typeIfLj2EELj2ELj16EEvPT_S3_,comdat
.Lfunc_end14:
	.size	_Z18vector_test_kernelI15HIP_vector_typeIfLj2EELj2ELj16EEvPT_S3_, .Lfunc_end14-_Z18vector_test_kernelI15HIP_vector_typeIfLj2EELj2ELj16EEvPT_S3_
                                        ; -- End function
	.set _Z18vector_test_kernelI15HIP_vector_typeIfLj2EELj2ELj16EEvPT_S3_.num_vgpr, 3
	.set _Z18vector_test_kernelI15HIP_vector_typeIfLj2EELj2ELj16EEvPT_S3_.num_agpr, 0
	.set _Z18vector_test_kernelI15HIP_vector_typeIfLj2EELj2ELj16EEvPT_S3_.numbered_sgpr, 7
	.set _Z18vector_test_kernelI15HIP_vector_typeIfLj2EELj2ELj16EEvPT_S3_.num_named_barrier, 0
	.set _Z18vector_test_kernelI15HIP_vector_typeIfLj2EELj2ELj16EEvPT_S3_.private_seg_size, 0
	.set _Z18vector_test_kernelI15HIP_vector_typeIfLj2EELj2ELj16EEvPT_S3_.uses_vcc, 0
	.set _Z18vector_test_kernelI15HIP_vector_typeIfLj2EELj2ELj16EEvPT_S3_.uses_flat_scratch, 0
	.set _Z18vector_test_kernelI15HIP_vector_typeIfLj2EELj2ELj16EEvPT_S3_.has_dyn_sized_stack, 0
	.set _Z18vector_test_kernelI15HIP_vector_typeIfLj2EELj2ELj16EEvPT_S3_.has_recursion, 0
	.set _Z18vector_test_kernelI15HIP_vector_typeIfLj2EELj2ELj16EEvPT_S3_.has_indirect_call, 0
	.section	.AMDGPU.csdata,"",@progbits
; Kernel info:
; codeLenInByte = 100
; TotalNumSgprs: 7
; NumVgprs: 3
; ScratchSize: 0
; MemoryBound: 0
; FloatMode: 240
; IeeeMode: 1
; LDSByteSize: 0 bytes/workgroup (compile time only)
; SGPRBlocks: 0
; VGPRBlocks: 0
; NumSGPRsForWavesPerEU: 7
; NumVGPRsForWavesPerEU: 3
; NamedBarCnt: 0
; Occupancy: 16
; WaveLimiterHint : 0
; COMPUTE_PGM_RSRC2:SCRATCH_EN: 0
; COMPUTE_PGM_RSRC2:USER_SGPR: 2
; COMPUTE_PGM_RSRC2:TRAP_HANDLER: 0
; COMPUTE_PGM_RSRC2:TGID_X_EN: 1
; COMPUTE_PGM_RSRC2:TGID_Y_EN: 0
; COMPUTE_PGM_RSRC2:TGID_Z_EN: 0
; COMPUTE_PGM_RSRC2:TIDIG_COMP_CNT: 0
	.section	.text._Z18vector_test_kernelI15HIP_vector_typeIyLj2EELj2ELj16EEvPT_S3_,"axG",@progbits,_Z18vector_test_kernelI15HIP_vector_typeIyLj2EELj2ELj16EEvPT_S3_,comdat
	.protected	_Z18vector_test_kernelI15HIP_vector_typeIyLj2EELj2ELj16EEvPT_S3_ ; -- Begin function _Z18vector_test_kernelI15HIP_vector_typeIyLj2EELj2ELj16EEvPT_S3_
	.globl	_Z18vector_test_kernelI15HIP_vector_typeIyLj2EELj2ELj16EEvPT_S3_
	.p2align	8
	.type	_Z18vector_test_kernelI15HIP_vector_typeIyLj2EELj2ELj16EEvPT_S3_,@function
_Z18vector_test_kernelI15HIP_vector_typeIyLj2EELj2ELj16EEvPT_S3_: ; @_Z18vector_test_kernelI15HIP_vector_typeIyLj2EELj2ELj16EEvPT_S3_
; %bb.0:
	s_load_b64 s[0:1], s[0:1], 0x8
	s_bfe_u32 s2, ttmp6, 0x4000c
	s_and_b32 s3, ttmp6, 15
	s_add_co_i32 s2, s2, 1
	s_getreg_b32 s4, hwreg(HW_REG_IB_STS2, 6, 4)
	s_mul_i32 s2, ttmp9, s2
	v_mov_b32_e32 v2, 0
	s_add_co_i32 s3, s3, s2
	s_cmp_eq_u32 s4, 0
	s_cselect_b32 s2, ttmp9, s3
	s_delay_alu instid0(VALU_DEP_1)
	v_dual_mov_b32 v3, v2 :: v_dual_mov_b32 v4, v2
	v_lshl_add_u32 v0, s2, 4, v0
	v_mov_b32_e32 v5, v2
	s_wait_kmcnt 0x0
	global_store_b128 v0, v[2:5], s[0:1] scale_offset
	s_endpgm
	.section	.rodata,"a",@progbits
	.p2align	6, 0x0
	.amdhsa_kernel _Z18vector_test_kernelI15HIP_vector_typeIyLj2EELj2ELj16EEvPT_S3_
		.amdhsa_group_segment_fixed_size 0
		.amdhsa_private_segment_fixed_size 0
		.amdhsa_kernarg_size 16
		.amdhsa_user_sgpr_count 2
		.amdhsa_user_sgpr_dispatch_ptr 0
		.amdhsa_user_sgpr_queue_ptr 0
		.amdhsa_user_sgpr_kernarg_segment_ptr 1
		.amdhsa_user_sgpr_dispatch_id 0
		.amdhsa_user_sgpr_kernarg_preload_length 0
		.amdhsa_user_sgpr_kernarg_preload_offset 0
		.amdhsa_user_sgpr_private_segment_size 0
		.amdhsa_wavefront_size32 1
		.amdhsa_uses_dynamic_stack 0
		.amdhsa_enable_private_segment 0
		.amdhsa_system_sgpr_workgroup_id_x 1
		.amdhsa_system_sgpr_workgroup_id_y 0
		.amdhsa_system_sgpr_workgroup_id_z 0
		.amdhsa_system_sgpr_workgroup_info 0
		.amdhsa_system_vgpr_workitem_id 0
		.amdhsa_next_free_vgpr 6
		.amdhsa_next_free_sgpr 5
		.amdhsa_named_barrier_count 0
		.amdhsa_reserve_vcc 0
		.amdhsa_float_round_mode_32 0
		.amdhsa_float_round_mode_16_64 0
		.amdhsa_float_denorm_mode_32 3
		.amdhsa_float_denorm_mode_16_64 3
		.amdhsa_fp16_overflow 0
		.amdhsa_memory_ordered 1
		.amdhsa_forward_progress 1
		.amdhsa_inst_pref_size 1
		.amdhsa_round_robin_scheduling 0
		.amdhsa_exception_fp_ieee_invalid_op 0
		.amdhsa_exception_fp_denorm_src 0
		.amdhsa_exception_fp_ieee_div_zero 0
		.amdhsa_exception_fp_ieee_overflow 0
		.amdhsa_exception_fp_ieee_underflow 0
		.amdhsa_exception_fp_ieee_inexact 0
		.amdhsa_exception_int_div_zero 0
	.end_amdhsa_kernel
	.section	.text._Z18vector_test_kernelI15HIP_vector_typeIyLj2EELj2ELj16EEvPT_S3_,"axG",@progbits,_Z18vector_test_kernelI15HIP_vector_typeIyLj2EELj2ELj16EEvPT_S3_,comdat
.Lfunc_end15:
	.size	_Z18vector_test_kernelI15HIP_vector_typeIyLj2EELj2ELj16EEvPT_S3_, .Lfunc_end15-_Z18vector_test_kernelI15HIP_vector_typeIyLj2EELj2ELj16EEvPT_S3_
                                        ; -- End function
	.set _Z18vector_test_kernelI15HIP_vector_typeIyLj2EELj2ELj16EEvPT_S3_.num_vgpr, 6
	.set _Z18vector_test_kernelI15HIP_vector_typeIyLj2EELj2ELj16EEvPT_S3_.num_agpr, 0
	.set _Z18vector_test_kernelI15HIP_vector_typeIyLj2EELj2ELj16EEvPT_S3_.numbered_sgpr, 5
	.set _Z18vector_test_kernelI15HIP_vector_typeIyLj2EELj2ELj16EEvPT_S3_.num_named_barrier, 0
	.set _Z18vector_test_kernelI15HIP_vector_typeIyLj2EELj2ELj16EEvPT_S3_.private_seg_size, 0
	.set _Z18vector_test_kernelI15HIP_vector_typeIyLj2EELj2ELj16EEvPT_S3_.uses_vcc, 0
	.set _Z18vector_test_kernelI15HIP_vector_typeIyLj2EELj2ELj16EEvPT_S3_.uses_flat_scratch, 0
	.set _Z18vector_test_kernelI15HIP_vector_typeIyLj2EELj2ELj16EEvPT_S3_.has_dyn_sized_stack, 0
	.set _Z18vector_test_kernelI15HIP_vector_typeIyLj2EELj2ELj16EEvPT_S3_.has_recursion, 0
	.set _Z18vector_test_kernelI15HIP_vector_typeIyLj2EELj2ELj16EEvPT_S3_.has_indirect_call, 0
	.section	.AMDGPU.csdata,"",@progbits
; Kernel info:
; codeLenInByte = 92
; TotalNumSgprs: 5
; NumVgprs: 6
; ScratchSize: 0
; MemoryBound: 0
; FloatMode: 240
; IeeeMode: 1
; LDSByteSize: 0 bytes/workgroup (compile time only)
; SGPRBlocks: 0
; VGPRBlocks: 0
; NumSGPRsForWavesPerEU: 5
; NumVGPRsForWavesPerEU: 6
; NamedBarCnt: 0
; Occupancy: 16
; WaveLimiterHint : 0
; COMPUTE_PGM_RSRC2:SCRATCH_EN: 0
; COMPUTE_PGM_RSRC2:USER_SGPR: 2
; COMPUTE_PGM_RSRC2:TRAP_HANDLER: 0
; COMPUTE_PGM_RSRC2:TGID_X_EN: 1
; COMPUTE_PGM_RSRC2:TGID_Y_EN: 0
; COMPUTE_PGM_RSRC2:TGID_Z_EN: 0
; COMPUTE_PGM_RSRC2:TIDIG_COMP_CNT: 0
	.section	.text._Z18vector_test_kernelI15HIP_vector_typeIxLj2EELj2ELj16EEvPT_S3_,"axG",@progbits,_Z18vector_test_kernelI15HIP_vector_typeIxLj2EELj2ELj16EEvPT_S3_,comdat
	.protected	_Z18vector_test_kernelI15HIP_vector_typeIxLj2EELj2ELj16EEvPT_S3_ ; -- Begin function _Z18vector_test_kernelI15HIP_vector_typeIxLj2EELj2ELj16EEvPT_S3_
	.globl	_Z18vector_test_kernelI15HIP_vector_typeIxLj2EELj2ELj16EEvPT_S3_
	.p2align	8
	.type	_Z18vector_test_kernelI15HIP_vector_typeIxLj2EELj2ELj16EEvPT_S3_,@function
_Z18vector_test_kernelI15HIP_vector_typeIxLj2EELj2ELj16EEvPT_S3_: ; @_Z18vector_test_kernelI15HIP_vector_typeIxLj2EELj2ELj16EEvPT_S3_
; %bb.0:
	s_load_b64 s[0:1], s[0:1], 0x8
	s_bfe_u32 s2, ttmp6, 0x4000c
	s_and_b32 s3, ttmp6, 15
	s_add_co_i32 s2, s2, 1
	s_getreg_b32 s4, hwreg(HW_REG_IB_STS2, 6, 4)
	s_mul_i32 s2, ttmp9, s2
	v_mov_b32_e32 v2, 0
	s_add_co_i32 s3, s3, s2
	s_cmp_eq_u32 s4, 0
	s_cselect_b32 s2, ttmp9, s3
	s_delay_alu instid0(VALU_DEP_1)
	v_dual_mov_b32 v3, v2 :: v_dual_mov_b32 v4, v2
	v_lshl_add_u32 v0, s2, 4, v0
	v_mov_b32_e32 v5, v2
	s_wait_kmcnt 0x0
	global_store_b128 v0, v[2:5], s[0:1] scale_offset
	s_endpgm
	.section	.rodata,"a",@progbits
	.p2align	6, 0x0
	.amdhsa_kernel _Z18vector_test_kernelI15HIP_vector_typeIxLj2EELj2ELj16EEvPT_S3_
		.amdhsa_group_segment_fixed_size 0
		.amdhsa_private_segment_fixed_size 0
		.amdhsa_kernarg_size 16
		.amdhsa_user_sgpr_count 2
		.amdhsa_user_sgpr_dispatch_ptr 0
		.amdhsa_user_sgpr_queue_ptr 0
		.amdhsa_user_sgpr_kernarg_segment_ptr 1
		.amdhsa_user_sgpr_dispatch_id 0
		.amdhsa_user_sgpr_kernarg_preload_length 0
		.amdhsa_user_sgpr_kernarg_preload_offset 0
		.amdhsa_user_sgpr_private_segment_size 0
		.amdhsa_wavefront_size32 1
		.amdhsa_uses_dynamic_stack 0
		.amdhsa_enable_private_segment 0
		.amdhsa_system_sgpr_workgroup_id_x 1
		.amdhsa_system_sgpr_workgroup_id_y 0
		.amdhsa_system_sgpr_workgroup_id_z 0
		.amdhsa_system_sgpr_workgroup_info 0
		.amdhsa_system_vgpr_workitem_id 0
		.amdhsa_next_free_vgpr 6
		.amdhsa_next_free_sgpr 5
		.amdhsa_named_barrier_count 0
		.amdhsa_reserve_vcc 0
		.amdhsa_float_round_mode_32 0
		.amdhsa_float_round_mode_16_64 0
		.amdhsa_float_denorm_mode_32 3
		.amdhsa_float_denorm_mode_16_64 3
		.amdhsa_fp16_overflow 0
		.amdhsa_memory_ordered 1
		.amdhsa_forward_progress 1
		.amdhsa_inst_pref_size 1
		.amdhsa_round_robin_scheduling 0
		.amdhsa_exception_fp_ieee_invalid_op 0
		.amdhsa_exception_fp_denorm_src 0
		.amdhsa_exception_fp_ieee_div_zero 0
		.amdhsa_exception_fp_ieee_overflow 0
		.amdhsa_exception_fp_ieee_underflow 0
		.amdhsa_exception_fp_ieee_inexact 0
		.amdhsa_exception_int_div_zero 0
	.end_amdhsa_kernel
	.section	.text._Z18vector_test_kernelI15HIP_vector_typeIxLj2EELj2ELj16EEvPT_S3_,"axG",@progbits,_Z18vector_test_kernelI15HIP_vector_typeIxLj2EELj2ELj16EEvPT_S3_,comdat
.Lfunc_end16:
	.size	_Z18vector_test_kernelI15HIP_vector_typeIxLj2EELj2ELj16EEvPT_S3_, .Lfunc_end16-_Z18vector_test_kernelI15HIP_vector_typeIxLj2EELj2ELj16EEvPT_S3_
                                        ; -- End function
	.set _Z18vector_test_kernelI15HIP_vector_typeIxLj2EELj2ELj16EEvPT_S3_.num_vgpr, 6
	.set _Z18vector_test_kernelI15HIP_vector_typeIxLj2EELj2ELj16EEvPT_S3_.num_agpr, 0
	.set _Z18vector_test_kernelI15HIP_vector_typeIxLj2EELj2ELj16EEvPT_S3_.numbered_sgpr, 5
	.set _Z18vector_test_kernelI15HIP_vector_typeIxLj2EELj2ELj16EEvPT_S3_.num_named_barrier, 0
	.set _Z18vector_test_kernelI15HIP_vector_typeIxLj2EELj2ELj16EEvPT_S3_.private_seg_size, 0
	.set _Z18vector_test_kernelI15HIP_vector_typeIxLj2EELj2ELj16EEvPT_S3_.uses_vcc, 0
	.set _Z18vector_test_kernelI15HIP_vector_typeIxLj2EELj2ELj16EEvPT_S3_.uses_flat_scratch, 0
	.set _Z18vector_test_kernelI15HIP_vector_typeIxLj2EELj2ELj16EEvPT_S3_.has_dyn_sized_stack, 0
	.set _Z18vector_test_kernelI15HIP_vector_typeIxLj2EELj2ELj16EEvPT_S3_.has_recursion, 0
	.set _Z18vector_test_kernelI15HIP_vector_typeIxLj2EELj2ELj16EEvPT_S3_.has_indirect_call, 0
	.section	.AMDGPU.csdata,"",@progbits
; Kernel info:
; codeLenInByte = 92
; TotalNumSgprs: 5
; NumVgprs: 6
; ScratchSize: 0
; MemoryBound: 0
; FloatMode: 240
; IeeeMode: 1
; LDSByteSize: 0 bytes/workgroup (compile time only)
; SGPRBlocks: 0
; VGPRBlocks: 0
; NumSGPRsForWavesPerEU: 5
; NumVGPRsForWavesPerEU: 6
; NamedBarCnt: 0
; Occupancy: 16
; WaveLimiterHint : 0
; COMPUTE_PGM_RSRC2:SCRATCH_EN: 0
; COMPUTE_PGM_RSRC2:USER_SGPR: 2
; COMPUTE_PGM_RSRC2:TRAP_HANDLER: 0
; COMPUTE_PGM_RSRC2:TGID_X_EN: 1
; COMPUTE_PGM_RSRC2:TGID_Y_EN: 0
; COMPUTE_PGM_RSRC2:TGID_Z_EN: 0
; COMPUTE_PGM_RSRC2:TIDIG_COMP_CNT: 0
	.section	.text._Z18vector_test_kernelI15HIP_vector_typeImLj2EELj2ELj16EEvPT_S3_,"axG",@progbits,_Z18vector_test_kernelI15HIP_vector_typeImLj2EELj2ELj16EEvPT_S3_,comdat
	.protected	_Z18vector_test_kernelI15HIP_vector_typeImLj2EELj2ELj16EEvPT_S3_ ; -- Begin function _Z18vector_test_kernelI15HIP_vector_typeImLj2EELj2ELj16EEvPT_S3_
	.globl	_Z18vector_test_kernelI15HIP_vector_typeImLj2EELj2ELj16EEvPT_S3_
	.p2align	8
	.type	_Z18vector_test_kernelI15HIP_vector_typeImLj2EELj2ELj16EEvPT_S3_,@function
_Z18vector_test_kernelI15HIP_vector_typeImLj2EELj2ELj16EEvPT_S3_: ; @_Z18vector_test_kernelI15HIP_vector_typeImLj2EELj2ELj16EEvPT_S3_
; %bb.0:
	s_load_b64 s[0:1], s[0:1], 0x8
	s_bfe_u32 s2, ttmp6, 0x4000c
	s_and_b32 s3, ttmp6, 15
	s_add_co_i32 s2, s2, 1
	s_getreg_b32 s4, hwreg(HW_REG_IB_STS2, 6, 4)
	s_mul_i32 s2, ttmp9, s2
	v_mov_b32_e32 v2, 0
	s_add_co_i32 s3, s3, s2
	s_cmp_eq_u32 s4, 0
	s_cselect_b32 s2, ttmp9, s3
	s_delay_alu instid0(VALU_DEP_1)
	v_dual_mov_b32 v3, v2 :: v_dual_mov_b32 v4, v2
	v_lshl_add_u32 v0, s2, 4, v0
	v_mov_b32_e32 v5, v2
	s_wait_kmcnt 0x0
	global_store_b128 v0, v[2:5], s[0:1] scale_offset
	s_endpgm
	.section	.rodata,"a",@progbits
	.p2align	6, 0x0
	.amdhsa_kernel _Z18vector_test_kernelI15HIP_vector_typeImLj2EELj2ELj16EEvPT_S3_
		.amdhsa_group_segment_fixed_size 0
		.amdhsa_private_segment_fixed_size 0
		.amdhsa_kernarg_size 16
		.amdhsa_user_sgpr_count 2
		.amdhsa_user_sgpr_dispatch_ptr 0
		.amdhsa_user_sgpr_queue_ptr 0
		.amdhsa_user_sgpr_kernarg_segment_ptr 1
		.amdhsa_user_sgpr_dispatch_id 0
		.amdhsa_user_sgpr_kernarg_preload_length 0
		.amdhsa_user_sgpr_kernarg_preload_offset 0
		.amdhsa_user_sgpr_private_segment_size 0
		.amdhsa_wavefront_size32 1
		.amdhsa_uses_dynamic_stack 0
		.amdhsa_enable_private_segment 0
		.amdhsa_system_sgpr_workgroup_id_x 1
		.amdhsa_system_sgpr_workgroup_id_y 0
		.amdhsa_system_sgpr_workgroup_id_z 0
		.amdhsa_system_sgpr_workgroup_info 0
		.amdhsa_system_vgpr_workitem_id 0
		.amdhsa_next_free_vgpr 6
		.amdhsa_next_free_sgpr 5
		.amdhsa_named_barrier_count 0
		.amdhsa_reserve_vcc 0
		.amdhsa_float_round_mode_32 0
		.amdhsa_float_round_mode_16_64 0
		.amdhsa_float_denorm_mode_32 3
		.amdhsa_float_denorm_mode_16_64 3
		.amdhsa_fp16_overflow 0
		.amdhsa_memory_ordered 1
		.amdhsa_forward_progress 1
		.amdhsa_inst_pref_size 1
		.amdhsa_round_robin_scheduling 0
		.amdhsa_exception_fp_ieee_invalid_op 0
		.amdhsa_exception_fp_denorm_src 0
		.amdhsa_exception_fp_ieee_div_zero 0
		.amdhsa_exception_fp_ieee_overflow 0
		.amdhsa_exception_fp_ieee_underflow 0
		.amdhsa_exception_fp_ieee_inexact 0
		.amdhsa_exception_int_div_zero 0
	.end_amdhsa_kernel
	.section	.text._Z18vector_test_kernelI15HIP_vector_typeImLj2EELj2ELj16EEvPT_S3_,"axG",@progbits,_Z18vector_test_kernelI15HIP_vector_typeImLj2EELj2ELj16EEvPT_S3_,comdat
.Lfunc_end17:
	.size	_Z18vector_test_kernelI15HIP_vector_typeImLj2EELj2ELj16EEvPT_S3_, .Lfunc_end17-_Z18vector_test_kernelI15HIP_vector_typeImLj2EELj2ELj16EEvPT_S3_
                                        ; -- End function
	.set _Z18vector_test_kernelI15HIP_vector_typeImLj2EELj2ELj16EEvPT_S3_.num_vgpr, 6
	.set _Z18vector_test_kernelI15HIP_vector_typeImLj2EELj2ELj16EEvPT_S3_.num_agpr, 0
	.set _Z18vector_test_kernelI15HIP_vector_typeImLj2EELj2ELj16EEvPT_S3_.numbered_sgpr, 5
	.set _Z18vector_test_kernelI15HIP_vector_typeImLj2EELj2ELj16EEvPT_S3_.num_named_barrier, 0
	.set _Z18vector_test_kernelI15HIP_vector_typeImLj2EELj2ELj16EEvPT_S3_.private_seg_size, 0
	.set _Z18vector_test_kernelI15HIP_vector_typeImLj2EELj2ELj16EEvPT_S3_.uses_vcc, 0
	.set _Z18vector_test_kernelI15HIP_vector_typeImLj2EELj2ELj16EEvPT_S3_.uses_flat_scratch, 0
	.set _Z18vector_test_kernelI15HIP_vector_typeImLj2EELj2ELj16EEvPT_S3_.has_dyn_sized_stack, 0
	.set _Z18vector_test_kernelI15HIP_vector_typeImLj2EELj2ELj16EEvPT_S3_.has_recursion, 0
	.set _Z18vector_test_kernelI15HIP_vector_typeImLj2EELj2ELj16EEvPT_S3_.has_indirect_call, 0
	.section	.AMDGPU.csdata,"",@progbits
; Kernel info:
; codeLenInByte = 92
; TotalNumSgprs: 5
; NumVgprs: 6
; ScratchSize: 0
; MemoryBound: 0
; FloatMode: 240
; IeeeMode: 1
; LDSByteSize: 0 bytes/workgroup (compile time only)
; SGPRBlocks: 0
; VGPRBlocks: 0
; NumSGPRsForWavesPerEU: 5
; NumVGPRsForWavesPerEU: 6
; NamedBarCnt: 0
; Occupancy: 16
; WaveLimiterHint : 0
; COMPUTE_PGM_RSRC2:SCRATCH_EN: 0
; COMPUTE_PGM_RSRC2:USER_SGPR: 2
; COMPUTE_PGM_RSRC2:TRAP_HANDLER: 0
; COMPUTE_PGM_RSRC2:TGID_X_EN: 1
; COMPUTE_PGM_RSRC2:TGID_Y_EN: 0
; COMPUTE_PGM_RSRC2:TGID_Z_EN: 0
; COMPUTE_PGM_RSRC2:TIDIG_COMP_CNT: 0
	.section	.text._Z18vector_test_kernelI15HIP_vector_typeIlLj2EELj2ELj16EEvPT_S3_,"axG",@progbits,_Z18vector_test_kernelI15HIP_vector_typeIlLj2EELj2ELj16EEvPT_S3_,comdat
	.protected	_Z18vector_test_kernelI15HIP_vector_typeIlLj2EELj2ELj16EEvPT_S3_ ; -- Begin function _Z18vector_test_kernelI15HIP_vector_typeIlLj2EELj2ELj16EEvPT_S3_
	.globl	_Z18vector_test_kernelI15HIP_vector_typeIlLj2EELj2ELj16EEvPT_S3_
	.p2align	8
	.type	_Z18vector_test_kernelI15HIP_vector_typeIlLj2EELj2ELj16EEvPT_S3_,@function
_Z18vector_test_kernelI15HIP_vector_typeIlLj2EELj2ELj16EEvPT_S3_: ; @_Z18vector_test_kernelI15HIP_vector_typeIlLj2EELj2ELj16EEvPT_S3_
; %bb.0:
	s_load_b64 s[0:1], s[0:1], 0x8
	s_bfe_u32 s2, ttmp6, 0x4000c
	s_and_b32 s3, ttmp6, 15
	s_add_co_i32 s2, s2, 1
	s_getreg_b32 s4, hwreg(HW_REG_IB_STS2, 6, 4)
	s_mul_i32 s2, ttmp9, s2
	v_mov_b32_e32 v2, 0
	s_add_co_i32 s3, s3, s2
	s_cmp_eq_u32 s4, 0
	s_cselect_b32 s2, ttmp9, s3
	s_delay_alu instid0(VALU_DEP_1)
	v_dual_mov_b32 v3, v2 :: v_dual_mov_b32 v4, v2
	v_lshl_add_u32 v0, s2, 4, v0
	v_mov_b32_e32 v5, v2
	s_wait_kmcnt 0x0
	global_store_b128 v0, v[2:5], s[0:1] scale_offset
	s_endpgm
	.section	.rodata,"a",@progbits
	.p2align	6, 0x0
	.amdhsa_kernel _Z18vector_test_kernelI15HIP_vector_typeIlLj2EELj2ELj16EEvPT_S3_
		.amdhsa_group_segment_fixed_size 0
		.amdhsa_private_segment_fixed_size 0
		.amdhsa_kernarg_size 16
		.amdhsa_user_sgpr_count 2
		.amdhsa_user_sgpr_dispatch_ptr 0
		.amdhsa_user_sgpr_queue_ptr 0
		.amdhsa_user_sgpr_kernarg_segment_ptr 1
		.amdhsa_user_sgpr_dispatch_id 0
		.amdhsa_user_sgpr_kernarg_preload_length 0
		.amdhsa_user_sgpr_kernarg_preload_offset 0
		.amdhsa_user_sgpr_private_segment_size 0
		.amdhsa_wavefront_size32 1
		.amdhsa_uses_dynamic_stack 0
		.amdhsa_enable_private_segment 0
		.amdhsa_system_sgpr_workgroup_id_x 1
		.amdhsa_system_sgpr_workgroup_id_y 0
		.amdhsa_system_sgpr_workgroup_id_z 0
		.amdhsa_system_sgpr_workgroup_info 0
		.amdhsa_system_vgpr_workitem_id 0
		.amdhsa_next_free_vgpr 6
		.amdhsa_next_free_sgpr 5
		.amdhsa_named_barrier_count 0
		.amdhsa_reserve_vcc 0
		.amdhsa_float_round_mode_32 0
		.amdhsa_float_round_mode_16_64 0
		.amdhsa_float_denorm_mode_32 3
		.amdhsa_float_denorm_mode_16_64 3
		.amdhsa_fp16_overflow 0
		.amdhsa_memory_ordered 1
		.amdhsa_forward_progress 1
		.amdhsa_inst_pref_size 1
		.amdhsa_round_robin_scheduling 0
		.amdhsa_exception_fp_ieee_invalid_op 0
		.amdhsa_exception_fp_denorm_src 0
		.amdhsa_exception_fp_ieee_div_zero 0
		.amdhsa_exception_fp_ieee_overflow 0
		.amdhsa_exception_fp_ieee_underflow 0
		.amdhsa_exception_fp_ieee_inexact 0
		.amdhsa_exception_int_div_zero 0
	.end_amdhsa_kernel
	.section	.text._Z18vector_test_kernelI15HIP_vector_typeIlLj2EELj2ELj16EEvPT_S3_,"axG",@progbits,_Z18vector_test_kernelI15HIP_vector_typeIlLj2EELj2ELj16EEvPT_S3_,comdat
.Lfunc_end18:
	.size	_Z18vector_test_kernelI15HIP_vector_typeIlLj2EELj2ELj16EEvPT_S3_, .Lfunc_end18-_Z18vector_test_kernelI15HIP_vector_typeIlLj2EELj2ELj16EEvPT_S3_
                                        ; -- End function
	.set _Z18vector_test_kernelI15HIP_vector_typeIlLj2EELj2ELj16EEvPT_S3_.num_vgpr, 6
	.set _Z18vector_test_kernelI15HIP_vector_typeIlLj2EELj2ELj16EEvPT_S3_.num_agpr, 0
	.set _Z18vector_test_kernelI15HIP_vector_typeIlLj2EELj2ELj16EEvPT_S3_.numbered_sgpr, 5
	.set _Z18vector_test_kernelI15HIP_vector_typeIlLj2EELj2ELj16EEvPT_S3_.num_named_barrier, 0
	.set _Z18vector_test_kernelI15HIP_vector_typeIlLj2EELj2ELj16EEvPT_S3_.private_seg_size, 0
	.set _Z18vector_test_kernelI15HIP_vector_typeIlLj2EELj2ELj16EEvPT_S3_.uses_vcc, 0
	.set _Z18vector_test_kernelI15HIP_vector_typeIlLj2EELj2ELj16EEvPT_S3_.uses_flat_scratch, 0
	.set _Z18vector_test_kernelI15HIP_vector_typeIlLj2EELj2ELj16EEvPT_S3_.has_dyn_sized_stack, 0
	.set _Z18vector_test_kernelI15HIP_vector_typeIlLj2EELj2ELj16EEvPT_S3_.has_recursion, 0
	.set _Z18vector_test_kernelI15HIP_vector_typeIlLj2EELj2ELj16EEvPT_S3_.has_indirect_call, 0
	.section	.AMDGPU.csdata,"",@progbits
; Kernel info:
; codeLenInByte = 92
; TotalNumSgprs: 5
; NumVgprs: 6
; ScratchSize: 0
; MemoryBound: 0
; FloatMode: 240
; IeeeMode: 1
; LDSByteSize: 0 bytes/workgroup (compile time only)
; SGPRBlocks: 0
; VGPRBlocks: 0
; NumSGPRsForWavesPerEU: 5
; NumVGPRsForWavesPerEU: 6
; NamedBarCnt: 0
; Occupancy: 16
; WaveLimiterHint : 0
; COMPUTE_PGM_RSRC2:SCRATCH_EN: 0
; COMPUTE_PGM_RSRC2:USER_SGPR: 2
; COMPUTE_PGM_RSRC2:TRAP_HANDLER: 0
; COMPUTE_PGM_RSRC2:TGID_X_EN: 1
; COMPUTE_PGM_RSRC2:TGID_Y_EN: 0
; COMPUTE_PGM_RSRC2:TGID_Z_EN: 0
; COMPUTE_PGM_RSRC2:TIDIG_COMP_CNT: 0
	.section	.text._Z18vector_test_kernelI15HIP_vector_typeIjLj2EELj2ELj16EEvPT_S3_,"axG",@progbits,_Z18vector_test_kernelI15HIP_vector_typeIjLj2EELj2ELj16EEvPT_S3_,comdat
	.protected	_Z18vector_test_kernelI15HIP_vector_typeIjLj2EELj2ELj16EEvPT_S3_ ; -- Begin function _Z18vector_test_kernelI15HIP_vector_typeIjLj2EELj2ELj16EEvPT_S3_
	.globl	_Z18vector_test_kernelI15HIP_vector_typeIjLj2EELj2ELj16EEvPT_S3_
	.p2align	8
	.type	_Z18vector_test_kernelI15HIP_vector_typeIjLj2EELj2ELj16EEvPT_S3_,@function
_Z18vector_test_kernelI15HIP_vector_typeIjLj2EELj2ELj16EEvPT_S3_: ; @_Z18vector_test_kernelI15HIP_vector_typeIjLj2EELj2ELj16EEvPT_S3_
; %bb.0:
	s_load_b64 s[0:1], s[0:1], 0x8
	s_bfe_u32 s2, ttmp6, 0x4000c
	s_and_b32 s3, ttmp6, 15
	s_add_co_i32 s2, s2, 1
	s_getreg_b32 s4, hwreg(HW_REG_IB_STS2, 6, 4)
	s_mul_i32 s2, ttmp9, s2
	v_mov_b64_e32 v[2:3], 0
	s_add_co_i32 s3, s3, s2
	s_cmp_eq_u32 s4, 0
	s_cselect_b32 s2, ttmp9, s3
	s_delay_alu instid0(SALU_CYCLE_1)
	v_lshl_add_u32 v0, s2, 4, v0
	s_wait_kmcnt 0x0
	global_store_b64 v0, v[2:3], s[0:1] scale_offset
	s_endpgm
	.section	.rodata,"a",@progbits
	.p2align	6, 0x0
	.amdhsa_kernel _Z18vector_test_kernelI15HIP_vector_typeIjLj2EELj2ELj16EEvPT_S3_
		.amdhsa_group_segment_fixed_size 0
		.amdhsa_private_segment_fixed_size 0
		.amdhsa_kernarg_size 16
		.amdhsa_user_sgpr_count 2
		.amdhsa_user_sgpr_dispatch_ptr 0
		.amdhsa_user_sgpr_queue_ptr 0
		.amdhsa_user_sgpr_kernarg_segment_ptr 1
		.amdhsa_user_sgpr_dispatch_id 0
		.amdhsa_user_sgpr_kernarg_preload_length 0
		.amdhsa_user_sgpr_kernarg_preload_offset 0
		.amdhsa_user_sgpr_private_segment_size 0
		.amdhsa_wavefront_size32 1
		.amdhsa_uses_dynamic_stack 0
		.amdhsa_enable_private_segment 0
		.amdhsa_system_sgpr_workgroup_id_x 1
		.amdhsa_system_sgpr_workgroup_id_y 0
		.amdhsa_system_sgpr_workgroup_id_z 0
		.amdhsa_system_sgpr_workgroup_info 0
		.amdhsa_system_vgpr_workitem_id 0
		.amdhsa_next_free_vgpr 4
		.amdhsa_next_free_sgpr 5
		.amdhsa_named_barrier_count 0
		.amdhsa_reserve_vcc 0
		.amdhsa_float_round_mode_32 0
		.amdhsa_float_round_mode_16_64 0
		.amdhsa_float_denorm_mode_32 3
		.amdhsa_float_denorm_mode_16_64 3
		.amdhsa_fp16_overflow 0
		.amdhsa_memory_ordered 1
		.amdhsa_forward_progress 1
		.amdhsa_inst_pref_size 1
		.amdhsa_round_robin_scheduling 0
		.amdhsa_exception_fp_ieee_invalid_op 0
		.amdhsa_exception_fp_denorm_src 0
		.amdhsa_exception_fp_ieee_div_zero 0
		.amdhsa_exception_fp_ieee_overflow 0
		.amdhsa_exception_fp_ieee_underflow 0
		.amdhsa_exception_fp_ieee_inexact 0
		.amdhsa_exception_int_div_zero 0
	.end_amdhsa_kernel
	.section	.text._Z18vector_test_kernelI15HIP_vector_typeIjLj2EELj2ELj16EEvPT_S3_,"axG",@progbits,_Z18vector_test_kernelI15HIP_vector_typeIjLj2EELj2ELj16EEvPT_S3_,comdat
.Lfunc_end19:
	.size	_Z18vector_test_kernelI15HIP_vector_typeIjLj2EELj2ELj16EEvPT_S3_, .Lfunc_end19-_Z18vector_test_kernelI15HIP_vector_typeIjLj2EELj2ELj16EEvPT_S3_
                                        ; -- End function
	.set _Z18vector_test_kernelI15HIP_vector_typeIjLj2EELj2ELj16EEvPT_S3_.num_vgpr, 4
	.set _Z18vector_test_kernelI15HIP_vector_typeIjLj2EELj2ELj16EEvPT_S3_.num_agpr, 0
	.set _Z18vector_test_kernelI15HIP_vector_typeIjLj2EELj2ELj16EEvPT_S3_.numbered_sgpr, 5
	.set _Z18vector_test_kernelI15HIP_vector_typeIjLj2EELj2ELj16EEvPT_S3_.num_named_barrier, 0
	.set _Z18vector_test_kernelI15HIP_vector_typeIjLj2EELj2ELj16EEvPT_S3_.private_seg_size, 0
	.set _Z18vector_test_kernelI15HIP_vector_typeIjLj2EELj2ELj16EEvPT_S3_.uses_vcc, 0
	.set _Z18vector_test_kernelI15HIP_vector_typeIjLj2EELj2ELj16EEvPT_S3_.uses_flat_scratch, 0
	.set _Z18vector_test_kernelI15HIP_vector_typeIjLj2EELj2ELj16EEvPT_S3_.has_dyn_sized_stack, 0
	.set _Z18vector_test_kernelI15HIP_vector_typeIjLj2EELj2ELj16EEvPT_S3_.has_recursion, 0
	.set _Z18vector_test_kernelI15HIP_vector_typeIjLj2EELj2ELj16EEvPT_S3_.has_indirect_call, 0
	.section	.AMDGPU.csdata,"",@progbits
; Kernel info:
; codeLenInByte = 80
; TotalNumSgprs: 5
; NumVgprs: 4
; ScratchSize: 0
; MemoryBound: 0
; FloatMode: 240
; IeeeMode: 1
; LDSByteSize: 0 bytes/workgroup (compile time only)
; SGPRBlocks: 0
; VGPRBlocks: 0
; NumSGPRsForWavesPerEU: 5
; NumVGPRsForWavesPerEU: 4
; NamedBarCnt: 0
; Occupancy: 16
; WaveLimiterHint : 0
; COMPUTE_PGM_RSRC2:SCRATCH_EN: 0
; COMPUTE_PGM_RSRC2:USER_SGPR: 2
; COMPUTE_PGM_RSRC2:TRAP_HANDLER: 0
; COMPUTE_PGM_RSRC2:TGID_X_EN: 1
; COMPUTE_PGM_RSRC2:TGID_Y_EN: 0
; COMPUTE_PGM_RSRC2:TGID_Z_EN: 0
; COMPUTE_PGM_RSRC2:TIDIG_COMP_CNT: 0
	.section	.text._Z18vector_test_kernelI15HIP_vector_typeIiLj2EELj2ELj16EEvPT_S3_,"axG",@progbits,_Z18vector_test_kernelI15HIP_vector_typeIiLj2EELj2ELj16EEvPT_S3_,comdat
	.protected	_Z18vector_test_kernelI15HIP_vector_typeIiLj2EELj2ELj16EEvPT_S3_ ; -- Begin function _Z18vector_test_kernelI15HIP_vector_typeIiLj2EELj2ELj16EEvPT_S3_
	.globl	_Z18vector_test_kernelI15HIP_vector_typeIiLj2EELj2ELj16EEvPT_S3_
	.p2align	8
	.type	_Z18vector_test_kernelI15HIP_vector_typeIiLj2EELj2ELj16EEvPT_S3_,@function
_Z18vector_test_kernelI15HIP_vector_typeIiLj2EELj2ELj16EEvPT_S3_: ; @_Z18vector_test_kernelI15HIP_vector_typeIiLj2EELj2ELj16EEvPT_S3_
; %bb.0:
	s_load_b64 s[0:1], s[0:1], 0x8
	s_bfe_u32 s2, ttmp6, 0x4000c
	s_and_b32 s3, ttmp6, 15
	s_add_co_i32 s2, s2, 1
	s_getreg_b32 s4, hwreg(HW_REG_IB_STS2, 6, 4)
	s_mul_i32 s2, ttmp9, s2
	v_mov_b64_e32 v[2:3], 0
	s_add_co_i32 s3, s3, s2
	s_cmp_eq_u32 s4, 0
	s_cselect_b32 s2, ttmp9, s3
	s_delay_alu instid0(SALU_CYCLE_1)
	v_lshl_add_u32 v0, s2, 4, v0
	s_wait_kmcnt 0x0
	global_store_b64 v0, v[2:3], s[0:1] scale_offset
	s_endpgm
	.section	.rodata,"a",@progbits
	.p2align	6, 0x0
	.amdhsa_kernel _Z18vector_test_kernelI15HIP_vector_typeIiLj2EELj2ELj16EEvPT_S3_
		.amdhsa_group_segment_fixed_size 0
		.amdhsa_private_segment_fixed_size 0
		.amdhsa_kernarg_size 16
		.amdhsa_user_sgpr_count 2
		.amdhsa_user_sgpr_dispatch_ptr 0
		.amdhsa_user_sgpr_queue_ptr 0
		.amdhsa_user_sgpr_kernarg_segment_ptr 1
		.amdhsa_user_sgpr_dispatch_id 0
		.amdhsa_user_sgpr_kernarg_preload_length 0
		.amdhsa_user_sgpr_kernarg_preload_offset 0
		.amdhsa_user_sgpr_private_segment_size 0
		.amdhsa_wavefront_size32 1
		.amdhsa_uses_dynamic_stack 0
		.amdhsa_enable_private_segment 0
		.amdhsa_system_sgpr_workgroup_id_x 1
		.amdhsa_system_sgpr_workgroup_id_y 0
		.amdhsa_system_sgpr_workgroup_id_z 0
		.amdhsa_system_sgpr_workgroup_info 0
		.amdhsa_system_vgpr_workitem_id 0
		.amdhsa_next_free_vgpr 4
		.amdhsa_next_free_sgpr 5
		.amdhsa_named_barrier_count 0
		.amdhsa_reserve_vcc 0
		.amdhsa_float_round_mode_32 0
		.amdhsa_float_round_mode_16_64 0
		.amdhsa_float_denorm_mode_32 3
		.amdhsa_float_denorm_mode_16_64 3
		.amdhsa_fp16_overflow 0
		.amdhsa_memory_ordered 1
		.amdhsa_forward_progress 1
		.amdhsa_inst_pref_size 1
		.amdhsa_round_robin_scheduling 0
		.amdhsa_exception_fp_ieee_invalid_op 0
		.amdhsa_exception_fp_denorm_src 0
		.amdhsa_exception_fp_ieee_div_zero 0
		.amdhsa_exception_fp_ieee_overflow 0
		.amdhsa_exception_fp_ieee_underflow 0
		.amdhsa_exception_fp_ieee_inexact 0
		.amdhsa_exception_int_div_zero 0
	.end_amdhsa_kernel
	.section	.text._Z18vector_test_kernelI15HIP_vector_typeIiLj2EELj2ELj16EEvPT_S3_,"axG",@progbits,_Z18vector_test_kernelI15HIP_vector_typeIiLj2EELj2ELj16EEvPT_S3_,comdat
.Lfunc_end20:
	.size	_Z18vector_test_kernelI15HIP_vector_typeIiLj2EELj2ELj16EEvPT_S3_, .Lfunc_end20-_Z18vector_test_kernelI15HIP_vector_typeIiLj2EELj2ELj16EEvPT_S3_
                                        ; -- End function
	.set _Z18vector_test_kernelI15HIP_vector_typeIiLj2EELj2ELj16EEvPT_S3_.num_vgpr, 4
	.set _Z18vector_test_kernelI15HIP_vector_typeIiLj2EELj2ELj16EEvPT_S3_.num_agpr, 0
	.set _Z18vector_test_kernelI15HIP_vector_typeIiLj2EELj2ELj16EEvPT_S3_.numbered_sgpr, 5
	.set _Z18vector_test_kernelI15HIP_vector_typeIiLj2EELj2ELj16EEvPT_S3_.num_named_barrier, 0
	.set _Z18vector_test_kernelI15HIP_vector_typeIiLj2EELj2ELj16EEvPT_S3_.private_seg_size, 0
	.set _Z18vector_test_kernelI15HIP_vector_typeIiLj2EELj2ELj16EEvPT_S3_.uses_vcc, 0
	.set _Z18vector_test_kernelI15HIP_vector_typeIiLj2EELj2ELj16EEvPT_S3_.uses_flat_scratch, 0
	.set _Z18vector_test_kernelI15HIP_vector_typeIiLj2EELj2ELj16EEvPT_S3_.has_dyn_sized_stack, 0
	.set _Z18vector_test_kernelI15HIP_vector_typeIiLj2EELj2ELj16EEvPT_S3_.has_recursion, 0
	.set _Z18vector_test_kernelI15HIP_vector_typeIiLj2EELj2ELj16EEvPT_S3_.has_indirect_call, 0
	.section	.AMDGPU.csdata,"",@progbits
; Kernel info:
; codeLenInByte = 80
; TotalNumSgprs: 5
; NumVgprs: 4
; ScratchSize: 0
; MemoryBound: 0
; FloatMode: 240
; IeeeMode: 1
; LDSByteSize: 0 bytes/workgroup (compile time only)
; SGPRBlocks: 0
; VGPRBlocks: 0
; NumSGPRsForWavesPerEU: 5
; NumVGPRsForWavesPerEU: 4
; NamedBarCnt: 0
; Occupancy: 16
; WaveLimiterHint : 0
; COMPUTE_PGM_RSRC2:SCRATCH_EN: 0
; COMPUTE_PGM_RSRC2:USER_SGPR: 2
; COMPUTE_PGM_RSRC2:TRAP_HANDLER: 0
; COMPUTE_PGM_RSRC2:TGID_X_EN: 1
; COMPUTE_PGM_RSRC2:TGID_Y_EN: 0
; COMPUTE_PGM_RSRC2:TGID_Z_EN: 0
; COMPUTE_PGM_RSRC2:TIDIG_COMP_CNT: 0
	.section	.text._Z18vector_test_kernelI15HIP_vector_typeItLj2EELj2ELj16EEvPT_S3_,"axG",@progbits,_Z18vector_test_kernelI15HIP_vector_typeItLj2EELj2ELj16EEvPT_S3_,comdat
	.protected	_Z18vector_test_kernelI15HIP_vector_typeItLj2EELj2ELj16EEvPT_S3_ ; -- Begin function _Z18vector_test_kernelI15HIP_vector_typeItLj2EELj2ELj16EEvPT_S3_
	.globl	_Z18vector_test_kernelI15HIP_vector_typeItLj2EELj2ELj16EEvPT_S3_
	.p2align	8
	.type	_Z18vector_test_kernelI15HIP_vector_typeItLj2EELj2ELj16EEvPT_S3_,@function
_Z18vector_test_kernelI15HIP_vector_typeItLj2EELj2ELj16EEvPT_S3_: ; @_Z18vector_test_kernelI15HIP_vector_typeItLj2EELj2ELj16EEvPT_S3_
; %bb.0:
	s_load_b64 s[0:1], s[0:1], 0x8
	s_bfe_u32 s2, ttmp6, 0x4000c
	s_and_b32 s3, ttmp6, 15
	s_add_co_i32 s2, s2, 1
	s_getreg_b32 s4, hwreg(HW_REG_IB_STS2, 6, 4)
	s_mul_i32 s2, ttmp9, s2
	v_mov_b32_e32 v1, 0
	s_add_co_i32 s3, s3, s2
	s_cmp_eq_u32 s4, 0
	s_cselect_b32 s2, ttmp9, s3
	s_delay_alu instid0(SALU_CYCLE_1)
	v_lshl_add_u32 v0, s2, 4, v0
	s_wait_kmcnt 0x0
	global_store_b32 v0, v1, s[0:1] scale_offset
	s_endpgm
	.section	.rodata,"a",@progbits
	.p2align	6, 0x0
	.amdhsa_kernel _Z18vector_test_kernelI15HIP_vector_typeItLj2EELj2ELj16EEvPT_S3_
		.amdhsa_group_segment_fixed_size 0
		.amdhsa_private_segment_fixed_size 0
		.amdhsa_kernarg_size 16
		.amdhsa_user_sgpr_count 2
		.amdhsa_user_sgpr_dispatch_ptr 0
		.amdhsa_user_sgpr_queue_ptr 0
		.amdhsa_user_sgpr_kernarg_segment_ptr 1
		.amdhsa_user_sgpr_dispatch_id 0
		.amdhsa_user_sgpr_kernarg_preload_length 0
		.amdhsa_user_sgpr_kernarg_preload_offset 0
		.amdhsa_user_sgpr_private_segment_size 0
		.amdhsa_wavefront_size32 1
		.amdhsa_uses_dynamic_stack 0
		.amdhsa_enable_private_segment 0
		.amdhsa_system_sgpr_workgroup_id_x 1
		.amdhsa_system_sgpr_workgroup_id_y 0
		.amdhsa_system_sgpr_workgroup_id_z 0
		.amdhsa_system_sgpr_workgroup_info 0
		.amdhsa_system_vgpr_workitem_id 0
		.amdhsa_next_free_vgpr 2
		.amdhsa_next_free_sgpr 5
		.amdhsa_named_barrier_count 0
		.amdhsa_reserve_vcc 0
		.amdhsa_float_round_mode_32 0
		.amdhsa_float_round_mode_16_64 0
		.amdhsa_float_denorm_mode_32 3
		.amdhsa_float_denorm_mode_16_64 3
		.amdhsa_fp16_overflow 0
		.amdhsa_memory_ordered 1
		.amdhsa_forward_progress 1
		.amdhsa_inst_pref_size 1
		.amdhsa_round_robin_scheduling 0
		.amdhsa_exception_fp_ieee_invalid_op 0
		.amdhsa_exception_fp_denorm_src 0
		.amdhsa_exception_fp_ieee_div_zero 0
		.amdhsa_exception_fp_ieee_overflow 0
		.amdhsa_exception_fp_ieee_underflow 0
		.amdhsa_exception_fp_ieee_inexact 0
		.amdhsa_exception_int_div_zero 0
	.end_amdhsa_kernel
	.section	.text._Z18vector_test_kernelI15HIP_vector_typeItLj2EELj2ELj16EEvPT_S3_,"axG",@progbits,_Z18vector_test_kernelI15HIP_vector_typeItLj2EELj2ELj16EEvPT_S3_,comdat
.Lfunc_end21:
	.size	_Z18vector_test_kernelI15HIP_vector_typeItLj2EELj2ELj16EEvPT_S3_, .Lfunc_end21-_Z18vector_test_kernelI15HIP_vector_typeItLj2EELj2ELj16EEvPT_S3_
                                        ; -- End function
	.set _Z18vector_test_kernelI15HIP_vector_typeItLj2EELj2ELj16EEvPT_S3_.num_vgpr, 2
	.set _Z18vector_test_kernelI15HIP_vector_typeItLj2EELj2ELj16EEvPT_S3_.num_agpr, 0
	.set _Z18vector_test_kernelI15HIP_vector_typeItLj2EELj2ELj16EEvPT_S3_.numbered_sgpr, 5
	.set _Z18vector_test_kernelI15HIP_vector_typeItLj2EELj2ELj16EEvPT_S3_.num_named_barrier, 0
	.set _Z18vector_test_kernelI15HIP_vector_typeItLj2EELj2ELj16EEvPT_S3_.private_seg_size, 0
	.set _Z18vector_test_kernelI15HIP_vector_typeItLj2EELj2ELj16EEvPT_S3_.uses_vcc, 0
	.set _Z18vector_test_kernelI15HIP_vector_typeItLj2EELj2ELj16EEvPT_S3_.uses_flat_scratch, 0
	.set _Z18vector_test_kernelI15HIP_vector_typeItLj2EELj2ELj16EEvPT_S3_.has_dyn_sized_stack, 0
	.set _Z18vector_test_kernelI15HIP_vector_typeItLj2EELj2ELj16EEvPT_S3_.has_recursion, 0
	.set _Z18vector_test_kernelI15HIP_vector_typeItLj2EELj2ELj16EEvPT_S3_.has_indirect_call, 0
	.section	.AMDGPU.csdata,"",@progbits
; Kernel info:
; codeLenInByte = 80
; TotalNumSgprs: 5
; NumVgprs: 2
; ScratchSize: 0
; MemoryBound: 0
; FloatMode: 240
; IeeeMode: 1
; LDSByteSize: 0 bytes/workgroup (compile time only)
; SGPRBlocks: 0
; VGPRBlocks: 0
; NumSGPRsForWavesPerEU: 5
; NumVGPRsForWavesPerEU: 2
; NamedBarCnt: 0
; Occupancy: 16
; WaveLimiterHint : 0
; COMPUTE_PGM_RSRC2:SCRATCH_EN: 0
; COMPUTE_PGM_RSRC2:USER_SGPR: 2
; COMPUTE_PGM_RSRC2:TRAP_HANDLER: 0
; COMPUTE_PGM_RSRC2:TGID_X_EN: 1
; COMPUTE_PGM_RSRC2:TGID_Y_EN: 0
; COMPUTE_PGM_RSRC2:TGID_Z_EN: 0
; COMPUTE_PGM_RSRC2:TIDIG_COMP_CNT: 0
	.section	.text._Z18vector_test_kernelI15HIP_vector_typeIsLj2EELj2ELj16EEvPT_S3_,"axG",@progbits,_Z18vector_test_kernelI15HIP_vector_typeIsLj2EELj2ELj16EEvPT_S3_,comdat
	.protected	_Z18vector_test_kernelI15HIP_vector_typeIsLj2EELj2ELj16EEvPT_S3_ ; -- Begin function _Z18vector_test_kernelI15HIP_vector_typeIsLj2EELj2ELj16EEvPT_S3_
	.globl	_Z18vector_test_kernelI15HIP_vector_typeIsLj2EELj2ELj16EEvPT_S3_
	.p2align	8
	.type	_Z18vector_test_kernelI15HIP_vector_typeIsLj2EELj2ELj16EEvPT_S3_,@function
_Z18vector_test_kernelI15HIP_vector_typeIsLj2EELj2ELj16EEvPT_S3_: ; @_Z18vector_test_kernelI15HIP_vector_typeIsLj2EELj2ELj16EEvPT_S3_
; %bb.0:
	s_load_b64 s[0:1], s[0:1], 0x8
	s_bfe_u32 s2, ttmp6, 0x4000c
	s_and_b32 s3, ttmp6, 15
	s_add_co_i32 s2, s2, 1
	s_getreg_b32 s4, hwreg(HW_REG_IB_STS2, 6, 4)
	s_mul_i32 s2, ttmp9, s2
	v_mov_b32_e32 v1, 0
	s_add_co_i32 s3, s3, s2
	s_cmp_eq_u32 s4, 0
	s_cselect_b32 s2, ttmp9, s3
	s_delay_alu instid0(SALU_CYCLE_1)
	v_lshl_add_u32 v0, s2, 4, v0
	s_wait_kmcnt 0x0
	global_store_b32 v0, v1, s[0:1] scale_offset
	s_endpgm
	.section	.rodata,"a",@progbits
	.p2align	6, 0x0
	.amdhsa_kernel _Z18vector_test_kernelI15HIP_vector_typeIsLj2EELj2ELj16EEvPT_S3_
		.amdhsa_group_segment_fixed_size 0
		.amdhsa_private_segment_fixed_size 0
		.amdhsa_kernarg_size 16
		.amdhsa_user_sgpr_count 2
		.amdhsa_user_sgpr_dispatch_ptr 0
		.amdhsa_user_sgpr_queue_ptr 0
		.amdhsa_user_sgpr_kernarg_segment_ptr 1
		.amdhsa_user_sgpr_dispatch_id 0
		.amdhsa_user_sgpr_kernarg_preload_length 0
		.amdhsa_user_sgpr_kernarg_preload_offset 0
		.amdhsa_user_sgpr_private_segment_size 0
		.amdhsa_wavefront_size32 1
		.amdhsa_uses_dynamic_stack 0
		.amdhsa_enable_private_segment 0
		.amdhsa_system_sgpr_workgroup_id_x 1
		.amdhsa_system_sgpr_workgroup_id_y 0
		.amdhsa_system_sgpr_workgroup_id_z 0
		.amdhsa_system_sgpr_workgroup_info 0
		.amdhsa_system_vgpr_workitem_id 0
		.amdhsa_next_free_vgpr 2
		.amdhsa_next_free_sgpr 5
		.amdhsa_named_barrier_count 0
		.amdhsa_reserve_vcc 0
		.amdhsa_float_round_mode_32 0
		.amdhsa_float_round_mode_16_64 0
		.amdhsa_float_denorm_mode_32 3
		.amdhsa_float_denorm_mode_16_64 3
		.amdhsa_fp16_overflow 0
		.amdhsa_memory_ordered 1
		.amdhsa_forward_progress 1
		.amdhsa_inst_pref_size 1
		.amdhsa_round_robin_scheduling 0
		.amdhsa_exception_fp_ieee_invalid_op 0
		.amdhsa_exception_fp_denorm_src 0
		.amdhsa_exception_fp_ieee_div_zero 0
		.amdhsa_exception_fp_ieee_overflow 0
		.amdhsa_exception_fp_ieee_underflow 0
		.amdhsa_exception_fp_ieee_inexact 0
		.amdhsa_exception_int_div_zero 0
	.end_amdhsa_kernel
	.section	.text._Z18vector_test_kernelI15HIP_vector_typeIsLj2EELj2ELj16EEvPT_S3_,"axG",@progbits,_Z18vector_test_kernelI15HIP_vector_typeIsLj2EELj2ELj16EEvPT_S3_,comdat
.Lfunc_end22:
	.size	_Z18vector_test_kernelI15HIP_vector_typeIsLj2EELj2ELj16EEvPT_S3_, .Lfunc_end22-_Z18vector_test_kernelI15HIP_vector_typeIsLj2EELj2ELj16EEvPT_S3_
                                        ; -- End function
	.set _Z18vector_test_kernelI15HIP_vector_typeIsLj2EELj2ELj16EEvPT_S3_.num_vgpr, 2
	.set _Z18vector_test_kernelI15HIP_vector_typeIsLj2EELj2ELj16EEvPT_S3_.num_agpr, 0
	.set _Z18vector_test_kernelI15HIP_vector_typeIsLj2EELj2ELj16EEvPT_S3_.numbered_sgpr, 5
	.set _Z18vector_test_kernelI15HIP_vector_typeIsLj2EELj2ELj16EEvPT_S3_.num_named_barrier, 0
	.set _Z18vector_test_kernelI15HIP_vector_typeIsLj2EELj2ELj16EEvPT_S3_.private_seg_size, 0
	.set _Z18vector_test_kernelI15HIP_vector_typeIsLj2EELj2ELj16EEvPT_S3_.uses_vcc, 0
	.set _Z18vector_test_kernelI15HIP_vector_typeIsLj2EELj2ELj16EEvPT_S3_.uses_flat_scratch, 0
	.set _Z18vector_test_kernelI15HIP_vector_typeIsLj2EELj2ELj16EEvPT_S3_.has_dyn_sized_stack, 0
	.set _Z18vector_test_kernelI15HIP_vector_typeIsLj2EELj2ELj16EEvPT_S3_.has_recursion, 0
	.set _Z18vector_test_kernelI15HIP_vector_typeIsLj2EELj2ELj16EEvPT_S3_.has_indirect_call, 0
	.section	.AMDGPU.csdata,"",@progbits
; Kernel info:
; codeLenInByte = 80
; TotalNumSgprs: 5
; NumVgprs: 2
; ScratchSize: 0
; MemoryBound: 0
; FloatMode: 240
; IeeeMode: 1
; LDSByteSize: 0 bytes/workgroup (compile time only)
; SGPRBlocks: 0
; VGPRBlocks: 0
; NumSGPRsForWavesPerEU: 5
; NumVGPRsForWavesPerEU: 2
; NamedBarCnt: 0
; Occupancy: 16
; WaveLimiterHint : 0
; COMPUTE_PGM_RSRC2:SCRATCH_EN: 0
; COMPUTE_PGM_RSRC2:USER_SGPR: 2
; COMPUTE_PGM_RSRC2:TRAP_HANDLER: 0
; COMPUTE_PGM_RSRC2:TGID_X_EN: 1
; COMPUTE_PGM_RSRC2:TGID_Y_EN: 0
; COMPUTE_PGM_RSRC2:TGID_Z_EN: 0
; COMPUTE_PGM_RSRC2:TIDIG_COMP_CNT: 0
	.section	.text._Z18vector_test_kernelI15HIP_vector_typeIcLj2EELj2ELj16EEvPT_S3_,"axG",@progbits,_Z18vector_test_kernelI15HIP_vector_typeIcLj2EELj2ELj16EEvPT_S3_,comdat
	.protected	_Z18vector_test_kernelI15HIP_vector_typeIcLj2EELj2ELj16EEvPT_S3_ ; -- Begin function _Z18vector_test_kernelI15HIP_vector_typeIcLj2EELj2ELj16EEvPT_S3_
	.globl	_Z18vector_test_kernelI15HIP_vector_typeIcLj2EELj2ELj16EEvPT_S3_
	.p2align	8
	.type	_Z18vector_test_kernelI15HIP_vector_typeIcLj2EELj2ELj16EEvPT_S3_,@function
_Z18vector_test_kernelI15HIP_vector_typeIcLj2EELj2ELj16EEvPT_S3_: ; @_Z18vector_test_kernelI15HIP_vector_typeIcLj2EELj2ELj16EEvPT_S3_
; %bb.0:
	s_load_b64 s[0:1], s[0:1], 0x8
	s_bfe_u32 s2, ttmp6, 0x4000c
	s_and_b32 s3, ttmp6, 15
	s_add_co_i32 s2, s2, 1
	s_getreg_b32 s4, hwreg(HW_REG_IB_STS2, 6, 4)
	s_mul_i32 s2, ttmp9, s2
	v_mov_b32_e32 v1, 0
	s_add_co_i32 s3, s3, s2
	s_cmp_eq_u32 s4, 0
	s_cselect_b32 s2, ttmp9, s3
	s_delay_alu instid0(SALU_CYCLE_1)
	v_lshl_add_u32 v0, s2, 4, v0
	s_wait_kmcnt 0x0
	global_store_b16 v0, v1, s[0:1] scale_offset
	s_endpgm
	.section	.rodata,"a",@progbits
	.p2align	6, 0x0
	.amdhsa_kernel _Z18vector_test_kernelI15HIP_vector_typeIcLj2EELj2ELj16EEvPT_S3_
		.amdhsa_group_segment_fixed_size 0
		.amdhsa_private_segment_fixed_size 0
		.amdhsa_kernarg_size 16
		.amdhsa_user_sgpr_count 2
		.amdhsa_user_sgpr_dispatch_ptr 0
		.amdhsa_user_sgpr_queue_ptr 0
		.amdhsa_user_sgpr_kernarg_segment_ptr 1
		.amdhsa_user_sgpr_dispatch_id 0
		.amdhsa_user_sgpr_kernarg_preload_length 0
		.amdhsa_user_sgpr_kernarg_preload_offset 0
		.amdhsa_user_sgpr_private_segment_size 0
		.amdhsa_wavefront_size32 1
		.amdhsa_uses_dynamic_stack 0
		.amdhsa_enable_private_segment 0
		.amdhsa_system_sgpr_workgroup_id_x 1
		.amdhsa_system_sgpr_workgroup_id_y 0
		.amdhsa_system_sgpr_workgroup_id_z 0
		.amdhsa_system_sgpr_workgroup_info 0
		.amdhsa_system_vgpr_workitem_id 0
		.amdhsa_next_free_vgpr 2
		.amdhsa_next_free_sgpr 5
		.amdhsa_named_barrier_count 0
		.amdhsa_reserve_vcc 0
		.amdhsa_float_round_mode_32 0
		.amdhsa_float_round_mode_16_64 0
		.amdhsa_float_denorm_mode_32 3
		.amdhsa_float_denorm_mode_16_64 3
		.amdhsa_fp16_overflow 0
		.amdhsa_memory_ordered 1
		.amdhsa_forward_progress 1
		.amdhsa_inst_pref_size 1
		.amdhsa_round_robin_scheduling 0
		.amdhsa_exception_fp_ieee_invalid_op 0
		.amdhsa_exception_fp_denorm_src 0
		.amdhsa_exception_fp_ieee_div_zero 0
		.amdhsa_exception_fp_ieee_overflow 0
		.amdhsa_exception_fp_ieee_underflow 0
		.amdhsa_exception_fp_ieee_inexact 0
		.amdhsa_exception_int_div_zero 0
	.end_amdhsa_kernel
	.section	.text._Z18vector_test_kernelI15HIP_vector_typeIcLj2EELj2ELj16EEvPT_S3_,"axG",@progbits,_Z18vector_test_kernelI15HIP_vector_typeIcLj2EELj2ELj16EEvPT_S3_,comdat
.Lfunc_end23:
	.size	_Z18vector_test_kernelI15HIP_vector_typeIcLj2EELj2ELj16EEvPT_S3_, .Lfunc_end23-_Z18vector_test_kernelI15HIP_vector_typeIcLj2EELj2ELj16EEvPT_S3_
                                        ; -- End function
	.set _Z18vector_test_kernelI15HIP_vector_typeIcLj2EELj2ELj16EEvPT_S3_.num_vgpr, 2
	.set _Z18vector_test_kernelI15HIP_vector_typeIcLj2EELj2ELj16EEvPT_S3_.num_agpr, 0
	.set _Z18vector_test_kernelI15HIP_vector_typeIcLj2EELj2ELj16EEvPT_S3_.numbered_sgpr, 5
	.set _Z18vector_test_kernelI15HIP_vector_typeIcLj2EELj2ELj16EEvPT_S3_.num_named_barrier, 0
	.set _Z18vector_test_kernelI15HIP_vector_typeIcLj2EELj2ELj16EEvPT_S3_.private_seg_size, 0
	.set _Z18vector_test_kernelI15HIP_vector_typeIcLj2EELj2ELj16EEvPT_S3_.uses_vcc, 0
	.set _Z18vector_test_kernelI15HIP_vector_typeIcLj2EELj2ELj16EEvPT_S3_.uses_flat_scratch, 0
	.set _Z18vector_test_kernelI15HIP_vector_typeIcLj2EELj2ELj16EEvPT_S3_.has_dyn_sized_stack, 0
	.set _Z18vector_test_kernelI15HIP_vector_typeIcLj2EELj2ELj16EEvPT_S3_.has_recursion, 0
	.set _Z18vector_test_kernelI15HIP_vector_typeIcLj2EELj2ELj16EEvPT_S3_.has_indirect_call, 0
	.section	.AMDGPU.csdata,"",@progbits
; Kernel info:
; codeLenInByte = 80
; TotalNumSgprs: 5
; NumVgprs: 2
; ScratchSize: 0
; MemoryBound: 0
; FloatMode: 240
; IeeeMode: 1
; LDSByteSize: 0 bytes/workgroup (compile time only)
; SGPRBlocks: 0
; VGPRBlocks: 0
; NumSGPRsForWavesPerEU: 5
; NumVGPRsForWavesPerEU: 2
; NamedBarCnt: 0
; Occupancy: 16
; WaveLimiterHint : 0
; COMPUTE_PGM_RSRC2:SCRATCH_EN: 0
; COMPUTE_PGM_RSRC2:USER_SGPR: 2
; COMPUTE_PGM_RSRC2:TRAP_HANDLER: 0
; COMPUTE_PGM_RSRC2:TGID_X_EN: 1
; COMPUTE_PGM_RSRC2:TGID_Y_EN: 0
; COMPUTE_PGM_RSRC2:TGID_Z_EN: 0
; COMPUTE_PGM_RSRC2:TIDIG_COMP_CNT: 0
	.section	.text._Z18vector_test_kernelI15HIP_vector_typeIhLj3EELj3ELj16EEvPT_S3_,"axG",@progbits,_Z18vector_test_kernelI15HIP_vector_typeIhLj3EELj3ELj16EEvPT_S3_,comdat
	.protected	_Z18vector_test_kernelI15HIP_vector_typeIhLj3EELj3ELj16EEvPT_S3_ ; -- Begin function _Z18vector_test_kernelI15HIP_vector_typeIhLj3EELj3ELj16EEvPT_S3_
	.globl	_Z18vector_test_kernelI15HIP_vector_typeIhLj3EELj3ELj16EEvPT_S3_
	.p2align	8
	.type	_Z18vector_test_kernelI15HIP_vector_typeIhLj3EELj3ELj16EEvPT_S3_,@function
_Z18vector_test_kernelI15HIP_vector_typeIhLj3EELj3ELj16EEvPT_S3_: ; @_Z18vector_test_kernelI15HIP_vector_typeIhLj3EELj3ELj16EEvPT_S3_
; %bb.0:
	s_load_b64 s[0:1], s[0:1], 0x8
	s_bfe_u32 s2, ttmp6, 0x4000c
	s_and_b32 s3, ttmp6, 15
	s_add_co_i32 s2, s2, 1
	s_getreg_b32 s4, hwreg(HW_REG_IB_STS2, 6, 4)
	s_mul_i32 s2, ttmp9, s2
	v_mov_b32_e32 v2, 0
	s_add_co_i32 s3, s3, s2
	s_cmp_eq_u32 s4, 0
	s_cselect_b32 s2, ttmp9, s3
	s_delay_alu instid0(SALU_CYCLE_1) | instskip(SKIP_1) | instid1(VALU_DEP_1)
	v_lshl_add_u32 v0, s2, 4, v0
	s_wait_kmcnt 0x0
	v_mad_nc_u64_u32 v[0:1], v0, 3, s[0:1]
	s_clause 0x1
	global_store_b8 v[0:1], v2, off offset:2
	global_store_b16 v[0:1], v2, off
	s_endpgm
	.section	.rodata,"a",@progbits
	.p2align	6, 0x0
	.amdhsa_kernel _Z18vector_test_kernelI15HIP_vector_typeIhLj3EELj3ELj16EEvPT_S3_
		.amdhsa_group_segment_fixed_size 0
		.amdhsa_private_segment_fixed_size 0
		.amdhsa_kernarg_size 16
		.amdhsa_user_sgpr_count 2
		.amdhsa_user_sgpr_dispatch_ptr 0
		.amdhsa_user_sgpr_queue_ptr 0
		.amdhsa_user_sgpr_kernarg_segment_ptr 1
		.amdhsa_user_sgpr_dispatch_id 0
		.amdhsa_user_sgpr_kernarg_preload_length 0
		.amdhsa_user_sgpr_kernarg_preload_offset 0
		.amdhsa_user_sgpr_private_segment_size 0
		.amdhsa_wavefront_size32 1
		.amdhsa_uses_dynamic_stack 0
		.amdhsa_enable_private_segment 0
		.amdhsa_system_sgpr_workgroup_id_x 1
		.amdhsa_system_sgpr_workgroup_id_y 0
		.amdhsa_system_sgpr_workgroup_id_z 0
		.amdhsa_system_sgpr_workgroup_info 0
		.amdhsa_system_vgpr_workitem_id 0
		.amdhsa_next_free_vgpr 3
		.amdhsa_next_free_sgpr 5
		.amdhsa_named_barrier_count 0
		.amdhsa_reserve_vcc 0
		.amdhsa_float_round_mode_32 0
		.amdhsa_float_round_mode_16_64 0
		.amdhsa_float_denorm_mode_32 3
		.amdhsa_float_denorm_mode_16_64 3
		.amdhsa_fp16_overflow 0
		.amdhsa_memory_ordered 1
		.amdhsa_forward_progress 1
		.amdhsa_inst_pref_size 1
		.amdhsa_round_robin_scheduling 0
		.amdhsa_exception_fp_ieee_invalid_op 0
		.amdhsa_exception_fp_denorm_src 0
		.amdhsa_exception_fp_ieee_div_zero 0
		.amdhsa_exception_fp_ieee_overflow 0
		.amdhsa_exception_fp_ieee_underflow 0
		.amdhsa_exception_fp_ieee_inexact 0
		.amdhsa_exception_int_div_zero 0
	.end_amdhsa_kernel
	.section	.text._Z18vector_test_kernelI15HIP_vector_typeIhLj3EELj3ELj16EEvPT_S3_,"axG",@progbits,_Z18vector_test_kernelI15HIP_vector_typeIhLj3EELj3ELj16EEvPT_S3_,comdat
.Lfunc_end24:
	.size	_Z18vector_test_kernelI15HIP_vector_typeIhLj3EELj3ELj16EEvPT_S3_, .Lfunc_end24-_Z18vector_test_kernelI15HIP_vector_typeIhLj3EELj3ELj16EEvPT_S3_
                                        ; -- End function
	.set _Z18vector_test_kernelI15HIP_vector_typeIhLj3EELj3ELj16EEvPT_S3_.num_vgpr, 3
	.set _Z18vector_test_kernelI15HIP_vector_typeIhLj3EELj3ELj16EEvPT_S3_.num_agpr, 0
	.set _Z18vector_test_kernelI15HIP_vector_typeIhLj3EELj3ELj16EEvPT_S3_.numbered_sgpr, 5
	.set _Z18vector_test_kernelI15HIP_vector_typeIhLj3EELj3ELj16EEvPT_S3_.num_named_barrier, 0
	.set _Z18vector_test_kernelI15HIP_vector_typeIhLj3EELj3ELj16EEvPT_S3_.private_seg_size, 0
	.set _Z18vector_test_kernelI15HIP_vector_typeIhLj3EELj3ELj16EEvPT_S3_.uses_vcc, 0
	.set _Z18vector_test_kernelI15HIP_vector_typeIhLj3EELj3ELj16EEvPT_S3_.uses_flat_scratch, 0
	.set _Z18vector_test_kernelI15HIP_vector_typeIhLj3EELj3ELj16EEvPT_S3_.has_dyn_sized_stack, 0
	.set _Z18vector_test_kernelI15HIP_vector_typeIhLj3EELj3ELj16EEvPT_S3_.has_recursion, 0
	.set _Z18vector_test_kernelI15HIP_vector_typeIhLj3EELj3ELj16EEvPT_S3_.has_indirect_call, 0
	.section	.AMDGPU.csdata,"",@progbits
; Kernel info:
; codeLenInByte = 104
; TotalNumSgprs: 5
; NumVgprs: 3
; ScratchSize: 0
; MemoryBound: 0
; FloatMode: 240
; IeeeMode: 1
; LDSByteSize: 0 bytes/workgroup (compile time only)
; SGPRBlocks: 0
; VGPRBlocks: 0
; NumSGPRsForWavesPerEU: 5
; NumVGPRsForWavesPerEU: 3
; NamedBarCnt: 0
; Occupancy: 16
; WaveLimiterHint : 0
; COMPUTE_PGM_RSRC2:SCRATCH_EN: 0
; COMPUTE_PGM_RSRC2:USER_SGPR: 2
; COMPUTE_PGM_RSRC2:TRAP_HANDLER: 0
; COMPUTE_PGM_RSRC2:TGID_X_EN: 1
; COMPUTE_PGM_RSRC2:TGID_Y_EN: 0
; COMPUTE_PGM_RSRC2:TGID_Z_EN: 0
; COMPUTE_PGM_RSRC2:TIDIG_COMP_CNT: 0
	.section	.text._Z18vector_test_kernelI15HIP_vector_typeIdLj3EELj3ELj16EEvPT_S3_,"axG",@progbits,_Z18vector_test_kernelI15HIP_vector_typeIdLj3EELj3ELj16EEvPT_S3_,comdat
	.protected	_Z18vector_test_kernelI15HIP_vector_typeIdLj3EELj3ELj16EEvPT_S3_ ; -- Begin function _Z18vector_test_kernelI15HIP_vector_typeIdLj3EELj3ELj16EEvPT_S3_
	.globl	_Z18vector_test_kernelI15HIP_vector_typeIdLj3EELj3ELj16EEvPT_S3_
	.p2align	8
	.type	_Z18vector_test_kernelI15HIP_vector_typeIdLj3EELj3ELj16EEvPT_S3_,@function
_Z18vector_test_kernelI15HIP_vector_typeIdLj3EELj3ELj16EEvPT_S3_: ; @_Z18vector_test_kernelI15HIP_vector_typeIdLj3EELj3ELj16EEvPT_S3_
; %bb.0:
	s_load_b128 s[0:3], s[0:1], 0x0
	s_bfe_u32 s4, ttmp6, 0x4000c
	s_and_b32 s5, ttmp6, 15
	s_add_co_i32 s4, s4, 1
	s_getreg_b32 s6, hwreg(HW_REG_IB_STS2, 6, 4)
	s_mul_i32 s4, ttmp9, s4
	s_delay_alu instid0(SALU_CYCLE_1) | instskip(SKIP_2) | instid1(SALU_CYCLE_1)
	s_add_co_i32 s5, s5, s4
	s_cmp_eq_u32 s6, 0
	s_cselect_b32 s4, ttmp9, s5
	v_lshl_add_u32 v8, s4, 4, v0
	s_wait_kmcnt 0x0
	s_delay_alu instid0(VALU_DEP_1)
	v_mad_nc_u64_u32 v[4:5], v8, 24, s[0:1]
	s_clause 0x1
	global_load_b128 v[0:3], v[4:5], off
	global_load_b64 v[6:7], v[4:5], off offset:16
	s_wait_loadcnt 0x1
	v_add_f64_e64 v[0:1], v[0:1], -v[0:1]
	v_add_f64_e64 v[2:3], v[2:3], -v[2:3]
	s_wait_loadcnt 0x0
	v_add_f64_e64 v[4:5], v[6:7], -v[6:7]
	v_mad_nc_u64_u32 v[6:7], v8, 24, s[2:3]
	s_clause 0x1
	global_store_b128 v[6:7], v[0:3], off
	global_store_b64 v[6:7], v[4:5], off offset:16
	s_endpgm
	.section	.rodata,"a",@progbits
	.p2align	6, 0x0
	.amdhsa_kernel _Z18vector_test_kernelI15HIP_vector_typeIdLj3EELj3ELj16EEvPT_S3_
		.amdhsa_group_segment_fixed_size 0
		.amdhsa_private_segment_fixed_size 0
		.amdhsa_kernarg_size 16
		.amdhsa_user_sgpr_count 2
		.amdhsa_user_sgpr_dispatch_ptr 0
		.amdhsa_user_sgpr_queue_ptr 0
		.amdhsa_user_sgpr_kernarg_segment_ptr 1
		.amdhsa_user_sgpr_dispatch_id 0
		.amdhsa_user_sgpr_kernarg_preload_length 0
		.amdhsa_user_sgpr_kernarg_preload_offset 0
		.amdhsa_user_sgpr_private_segment_size 0
		.amdhsa_wavefront_size32 1
		.amdhsa_uses_dynamic_stack 0
		.amdhsa_enable_private_segment 0
		.amdhsa_system_sgpr_workgroup_id_x 1
		.amdhsa_system_sgpr_workgroup_id_y 0
		.amdhsa_system_sgpr_workgroup_id_z 0
		.amdhsa_system_sgpr_workgroup_info 0
		.amdhsa_system_vgpr_workitem_id 0
		.amdhsa_next_free_vgpr 9
		.amdhsa_next_free_sgpr 7
		.amdhsa_named_barrier_count 0
		.amdhsa_reserve_vcc 0
		.amdhsa_float_round_mode_32 0
		.amdhsa_float_round_mode_16_64 0
		.amdhsa_float_denorm_mode_32 3
		.amdhsa_float_denorm_mode_16_64 3
		.amdhsa_fp16_overflow 0
		.amdhsa_memory_ordered 1
		.amdhsa_forward_progress 1
		.amdhsa_inst_pref_size 2
		.amdhsa_round_robin_scheduling 0
		.amdhsa_exception_fp_ieee_invalid_op 0
		.amdhsa_exception_fp_denorm_src 0
		.amdhsa_exception_fp_ieee_div_zero 0
		.amdhsa_exception_fp_ieee_overflow 0
		.amdhsa_exception_fp_ieee_underflow 0
		.amdhsa_exception_fp_ieee_inexact 0
		.amdhsa_exception_int_div_zero 0
	.end_amdhsa_kernel
	.section	.text._Z18vector_test_kernelI15HIP_vector_typeIdLj3EELj3ELj16EEvPT_S3_,"axG",@progbits,_Z18vector_test_kernelI15HIP_vector_typeIdLj3EELj3ELj16EEvPT_S3_,comdat
.Lfunc_end25:
	.size	_Z18vector_test_kernelI15HIP_vector_typeIdLj3EELj3ELj16EEvPT_S3_, .Lfunc_end25-_Z18vector_test_kernelI15HIP_vector_typeIdLj3EELj3ELj16EEvPT_S3_
                                        ; -- End function
	.set _Z18vector_test_kernelI15HIP_vector_typeIdLj3EELj3ELj16EEvPT_S3_.num_vgpr, 9
	.set _Z18vector_test_kernelI15HIP_vector_typeIdLj3EELj3ELj16EEvPT_S3_.num_agpr, 0
	.set _Z18vector_test_kernelI15HIP_vector_typeIdLj3EELj3ELj16EEvPT_S3_.numbered_sgpr, 7
	.set _Z18vector_test_kernelI15HIP_vector_typeIdLj3EELj3ELj16EEvPT_S3_.num_named_barrier, 0
	.set _Z18vector_test_kernelI15HIP_vector_typeIdLj3EELj3ELj16EEvPT_S3_.private_seg_size, 0
	.set _Z18vector_test_kernelI15HIP_vector_typeIdLj3EELj3ELj16EEvPT_S3_.uses_vcc, 0
	.set _Z18vector_test_kernelI15HIP_vector_typeIdLj3EELj3ELj16EEvPT_S3_.uses_flat_scratch, 0
	.set _Z18vector_test_kernelI15HIP_vector_typeIdLj3EELj3ELj16EEvPT_S3_.has_dyn_sized_stack, 0
	.set _Z18vector_test_kernelI15HIP_vector_typeIdLj3EELj3ELj16EEvPT_S3_.has_recursion, 0
	.set _Z18vector_test_kernelI15HIP_vector_typeIdLj3EELj3ELj16EEvPT_S3_.has_indirect_call, 0
	.section	.AMDGPU.csdata,"",@progbits
; Kernel info:
; codeLenInByte = 172
; TotalNumSgprs: 7
; NumVgprs: 9
; ScratchSize: 0
; MemoryBound: 0
; FloatMode: 240
; IeeeMode: 1
; LDSByteSize: 0 bytes/workgroup (compile time only)
; SGPRBlocks: 0
; VGPRBlocks: 0
; NumSGPRsForWavesPerEU: 7
; NumVGPRsForWavesPerEU: 9
; NamedBarCnt: 0
; Occupancy: 16
; WaveLimiterHint : 0
; COMPUTE_PGM_RSRC2:SCRATCH_EN: 0
; COMPUTE_PGM_RSRC2:USER_SGPR: 2
; COMPUTE_PGM_RSRC2:TRAP_HANDLER: 0
; COMPUTE_PGM_RSRC2:TGID_X_EN: 1
; COMPUTE_PGM_RSRC2:TGID_Y_EN: 0
; COMPUTE_PGM_RSRC2:TGID_Z_EN: 0
; COMPUTE_PGM_RSRC2:TIDIG_COMP_CNT: 0
	.section	.text._Z18vector_test_kernelI15HIP_vector_typeIfLj3EELj3ELj16EEvPT_S3_,"axG",@progbits,_Z18vector_test_kernelI15HIP_vector_typeIfLj3EELj3ELj16EEvPT_S3_,comdat
	.protected	_Z18vector_test_kernelI15HIP_vector_typeIfLj3EELj3ELj16EEvPT_S3_ ; -- Begin function _Z18vector_test_kernelI15HIP_vector_typeIfLj3EELj3ELj16EEvPT_S3_
	.globl	_Z18vector_test_kernelI15HIP_vector_typeIfLj3EELj3ELj16EEvPT_S3_
	.p2align	8
	.type	_Z18vector_test_kernelI15HIP_vector_typeIfLj3EELj3ELj16EEvPT_S3_,@function
_Z18vector_test_kernelI15HIP_vector_typeIfLj3EELj3ELj16EEvPT_S3_: ; @_Z18vector_test_kernelI15HIP_vector_typeIfLj3EELj3ELj16EEvPT_S3_
; %bb.0:
	s_load_b128 s[0:3], s[0:1], 0x0
	s_bfe_u32 s4, ttmp6, 0x4000c
	s_and_b32 s5, ttmp6, 15
	s_add_co_i32 s4, s4, 1
	s_getreg_b32 s6, hwreg(HW_REG_IB_STS2, 6, 4)
	s_mul_i32 s4, ttmp9, s4
	s_delay_alu instid0(SALU_CYCLE_1) | instskip(SKIP_2) | instid1(SALU_CYCLE_1)
	s_add_co_i32 s5, s5, s4
	s_cmp_eq_u32 s6, 0
	s_cselect_b32 s4, ttmp9, s5
	v_lshl_add_u32 v3, s4, 4, v0
	s_wait_kmcnt 0x0
	s_delay_alu instid0(VALU_DEP_1)
	v_mad_nc_u64_u32 v[0:1], v3, 12, s[0:1]
	v_mad_nc_u64_u32 v[4:5], v3, 12, s[2:3]
	global_load_b96 v[0:2], v[0:1], off
	s_wait_loadcnt 0x0
	v_sub_f32_e32 v2, v2, v2
	v_pk_add_f32 v[0:1], v[0:1], v[0:1] neg_lo:[0,1] neg_hi:[0,1]
	global_store_b96 v[4:5], v[0:2], off
	s_endpgm
	.section	.rodata,"a",@progbits
	.p2align	6, 0x0
	.amdhsa_kernel _Z18vector_test_kernelI15HIP_vector_typeIfLj3EELj3ELj16EEvPT_S3_
		.amdhsa_group_segment_fixed_size 0
		.amdhsa_private_segment_fixed_size 0
		.amdhsa_kernarg_size 16
		.amdhsa_user_sgpr_count 2
		.amdhsa_user_sgpr_dispatch_ptr 0
		.amdhsa_user_sgpr_queue_ptr 0
		.amdhsa_user_sgpr_kernarg_segment_ptr 1
		.amdhsa_user_sgpr_dispatch_id 0
		.amdhsa_user_sgpr_kernarg_preload_length 0
		.amdhsa_user_sgpr_kernarg_preload_offset 0
		.amdhsa_user_sgpr_private_segment_size 0
		.amdhsa_wavefront_size32 1
		.amdhsa_uses_dynamic_stack 0
		.amdhsa_enable_private_segment 0
		.amdhsa_system_sgpr_workgroup_id_x 1
		.amdhsa_system_sgpr_workgroup_id_y 0
		.amdhsa_system_sgpr_workgroup_id_z 0
		.amdhsa_system_sgpr_workgroup_info 0
		.amdhsa_system_vgpr_workitem_id 0
		.amdhsa_next_free_vgpr 6
		.amdhsa_next_free_sgpr 7
		.amdhsa_named_barrier_count 0
		.amdhsa_reserve_vcc 0
		.amdhsa_float_round_mode_32 0
		.amdhsa_float_round_mode_16_64 0
		.amdhsa_float_denorm_mode_32 3
		.amdhsa_float_denorm_mode_16_64 3
		.amdhsa_fp16_overflow 0
		.amdhsa_memory_ordered 1
		.amdhsa_forward_progress 1
		.amdhsa_inst_pref_size 1
		.amdhsa_round_robin_scheduling 0
		.amdhsa_exception_fp_ieee_invalid_op 0
		.amdhsa_exception_fp_denorm_src 0
		.amdhsa_exception_fp_ieee_div_zero 0
		.amdhsa_exception_fp_ieee_overflow 0
		.amdhsa_exception_fp_ieee_underflow 0
		.amdhsa_exception_fp_ieee_inexact 0
		.amdhsa_exception_int_div_zero 0
	.end_amdhsa_kernel
	.section	.text._Z18vector_test_kernelI15HIP_vector_typeIfLj3EELj3ELj16EEvPT_S3_,"axG",@progbits,_Z18vector_test_kernelI15HIP_vector_typeIfLj3EELj3ELj16EEvPT_S3_,comdat
.Lfunc_end26:
	.size	_Z18vector_test_kernelI15HIP_vector_typeIfLj3EELj3ELj16EEvPT_S3_, .Lfunc_end26-_Z18vector_test_kernelI15HIP_vector_typeIfLj3EELj3ELj16EEvPT_S3_
                                        ; -- End function
	.set _Z18vector_test_kernelI15HIP_vector_typeIfLj3EELj3ELj16EEvPT_S3_.num_vgpr, 6
	.set _Z18vector_test_kernelI15HIP_vector_typeIfLj3EELj3ELj16EEvPT_S3_.num_agpr, 0
	.set _Z18vector_test_kernelI15HIP_vector_typeIfLj3EELj3ELj16EEvPT_S3_.numbered_sgpr, 7
	.set _Z18vector_test_kernelI15HIP_vector_typeIfLj3EELj3ELj16EEvPT_S3_.num_named_barrier, 0
	.set _Z18vector_test_kernelI15HIP_vector_typeIfLj3EELj3ELj16EEvPT_S3_.private_seg_size, 0
	.set _Z18vector_test_kernelI15HIP_vector_typeIfLj3EELj3ELj16EEvPT_S3_.uses_vcc, 0
	.set _Z18vector_test_kernelI15HIP_vector_typeIfLj3EELj3ELj16EEvPT_S3_.uses_flat_scratch, 0
	.set _Z18vector_test_kernelI15HIP_vector_typeIfLj3EELj3ELj16EEvPT_S3_.has_dyn_sized_stack, 0
	.set _Z18vector_test_kernelI15HIP_vector_typeIfLj3EELj3ELj16EEvPT_S3_.has_recursion, 0
	.set _Z18vector_test_kernelI15HIP_vector_typeIfLj3EELj3ELj16EEvPT_S3_.has_indirect_call, 0
	.section	.AMDGPU.csdata,"",@progbits
; Kernel info:
; codeLenInByte = 124
; TotalNumSgprs: 7
; NumVgprs: 6
; ScratchSize: 0
; MemoryBound: 0
; FloatMode: 240
; IeeeMode: 1
; LDSByteSize: 0 bytes/workgroup (compile time only)
; SGPRBlocks: 0
; VGPRBlocks: 0
; NumSGPRsForWavesPerEU: 7
; NumVGPRsForWavesPerEU: 6
; NamedBarCnt: 0
; Occupancy: 16
; WaveLimiterHint : 0
; COMPUTE_PGM_RSRC2:SCRATCH_EN: 0
; COMPUTE_PGM_RSRC2:USER_SGPR: 2
; COMPUTE_PGM_RSRC2:TRAP_HANDLER: 0
; COMPUTE_PGM_RSRC2:TGID_X_EN: 1
; COMPUTE_PGM_RSRC2:TGID_Y_EN: 0
; COMPUTE_PGM_RSRC2:TGID_Z_EN: 0
; COMPUTE_PGM_RSRC2:TIDIG_COMP_CNT: 0
	.section	.text._Z18vector_test_kernelI15HIP_vector_typeIyLj3EELj3ELj16EEvPT_S3_,"axG",@progbits,_Z18vector_test_kernelI15HIP_vector_typeIyLj3EELj3ELj16EEvPT_S3_,comdat
	.protected	_Z18vector_test_kernelI15HIP_vector_typeIyLj3EELj3ELj16EEvPT_S3_ ; -- Begin function _Z18vector_test_kernelI15HIP_vector_typeIyLj3EELj3ELj16EEvPT_S3_
	.globl	_Z18vector_test_kernelI15HIP_vector_typeIyLj3EELj3ELj16EEvPT_S3_
	.p2align	8
	.type	_Z18vector_test_kernelI15HIP_vector_typeIyLj3EELj3ELj16EEvPT_S3_,@function
_Z18vector_test_kernelI15HIP_vector_typeIyLj3EELj3ELj16EEvPT_S3_: ; @_Z18vector_test_kernelI15HIP_vector_typeIyLj3EELj3ELj16EEvPT_S3_
; %bb.0:
	s_load_b64 s[0:1], s[0:1], 0x8
	s_bfe_u32 s2, ttmp6, 0x4000c
	s_and_b32 s3, ttmp6, 15
	s_add_co_i32 s2, s2, 1
	s_getreg_b32 s4, hwreg(HW_REG_IB_STS2, 6, 4)
	s_mul_i32 s2, ttmp9, s2
	v_mov_b64_e32 v[6:7], 0
	s_add_co_i32 s3, s3, s2
	s_cmp_eq_u32 s4, 0
	s_cselect_b32 s2, ttmp9, s3
	s_delay_alu instid0(SALU_CYCLE_1) | instskip(SKIP_1) | instid1(VALU_DEP_1)
	v_lshl_add_u32 v1, s2, 4, v0
	v_mov_b32_e32 v0, 0
	v_dual_mov_b32 v3, v0 :: v_dual_mov_b32 v2, v0
	s_wait_kmcnt 0x0
	s_delay_alu instid0(VALU_DEP_3)
	v_mad_nc_u64_u32 v[4:5], v1, 24, s[0:1]
	v_mov_b32_e32 v1, v0
	s_clause 0x1
	global_store_b128 v[4:5], v[0:3], off
	global_store_b64 v[4:5], v[6:7], off offset:16
	s_endpgm
	.section	.rodata,"a",@progbits
	.p2align	6, 0x0
	.amdhsa_kernel _Z18vector_test_kernelI15HIP_vector_typeIyLj3EELj3ELj16EEvPT_S3_
		.amdhsa_group_segment_fixed_size 0
		.amdhsa_private_segment_fixed_size 0
		.amdhsa_kernarg_size 16
		.amdhsa_user_sgpr_count 2
		.amdhsa_user_sgpr_dispatch_ptr 0
		.amdhsa_user_sgpr_queue_ptr 0
		.amdhsa_user_sgpr_kernarg_segment_ptr 1
		.amdhsa_user_sgpr_dispatch_id 0
		.amdhsa_user_sgpr_kernarg_preload_length 0
		.amdhsa_user_sgpr_kernarg_preload_offset 0
		.amdhsa_user_sgpr_private_segment_size 0
		.amdhsa_wavefront_size32 1
		.amdhsa_uses_dynamic_stack 0
		.amdhsa_enable_private_segment 0
		.amdhsa_system_sgpr_workgroup_id_x 1
		.amdhsa_system_sgpr_workgroup_id_y 0
		.amdhsa_system_sgpr_workgroup_id_z 0
		.amdhsa_system_sgpr_workgroup_info 0
		.amdhsa_system_vgpr_workitem_id 0
		.amdhsa_next_free_vgpr 8
		.amdhsa_next_free_sgpr 5
		.amdhsa_named_barrier_count 0
		.amdhsa_reserve_vcc 0
		.amdhsa_float_round_mode_32 0
		.amdhsa_float_round_mode_16_64 0
		.amdhsa_float_denorm_mode_32 3
		.amdhsa_float_denorm_mode_16_64 3
		.amdhsa_fp16_overflow 0
		.amdhsa_memory_ordered 1
		.amdhsa_forward_progress 1
		.amdhsa_inst_pref_size 1
		.amdhsa_round_robin_scheduling 0
		.amdhsa_exception_fp_ieee_invalid_op 0
		.amdhsa_exception_fp_denorm_src 0
		.amdhsa_exception_fp_ieee_div_zero 0
		.amdhsa_exception_fp_ieee_overflow 0
		.amdhsa_exception_fp_ieee_underflow 0
		.amdhsa_exception_fp_ieee_inexact 0
		.amdhsa_exception_int_div_zero 0
	.end_amdhsa_kernel
	.section	.text._Z18vector_test_kernelI15HIP_vector_typeIyLj3EELj3ELj16EEvPT_S3_,"axG",@progbits,_Z18vector_test_kernelI15HIP_vector_typeIyLj3EELj3ELj16EEvPT_S3_,comdat
.Lfunc_end27:
	.size	_Z18vector_test_kernelI15HIP_vector_typeIyLj3EELj3ELj16EEvPT_S3_, .Lfunc_end27-_Z18vector_test_kernelI15HIP_vector_typeIyLj3EELj3ELj16EEvPT_S3_
                                        ; -- End function
	.set _Z18vector_test_kernelI15HIP_vector_typeIyLj3EELj3ELj16EEvPT_S3_.num_vgpr, 8
	.set _Z18vector_test_kernelI15HIP_vector_typeIyLj3EELj3ELj16EEvPT_S3_.num_agpr, 0
	.set _Z18vector_test_kernelI15HIP_vector_typeIyLj3EELj3ELj16EEvPT_S3_.numbered_sgpr, 5
	.set _Z18vector_test_kernelI15HIP_vector_typeIyLj3EELj3ELj16EEvPT_S3_.num_named_barrier, 0
	.set _Z18vector_test_kernelI15HIP_vector_typeIyLj3EELj3ELj16EEvPT_S3_.private_seg_size, 0
	.set _Z18vector_test_kernelI15HIP_vector_typeIyLj3EELj3ELj16EEvPT_S3_.uses_vcc, 0
	.set _Z18vector_test_kernelI15HIP_vector_typeIyLj3EELj3ELj16EEvPT_S3_.uses_flat_scratch, 0
	.set _Z18vector_test_kernelI15HIP_vector_typeIyLj3EELj3ELj16EEvPT_S3_.has_dyn_sized_stack, 0
	.set _Z18vector_test_kernelI15HIP_vector_typeIyLj3EELj3ELj16EEvPT_S3_.has_recursion, 0
	.set _Z18vector_test_kernelI15HIP_vector_typeIyLj3EELj3ELj16EEvPT_S3_.has_indirect_call, 0
	.section	.AMDGPU.csdata,"",@progbits
; Kernel info:
; codeLenInByte = 124
; TotalNumSgprs: 5
; NumVgprs: 8
; ScratchSize: 0
; MemoryBound: 0
; FloatMode: 240
; IeeeMode: 1
; LDSByteSize: 0 bytes/workgroup (compile time only)
; SGPRBlocks: 0
; VGPRBlocks: 0
; NumSGPRsForWavesPerEU: 5
; NumVGPRsForWavesPerEU: 8
; NamedBarCnt: 0
; Occupancy: 16
; WaveLimiterHint : 0
; COMPUTE_PGM_RSRC2:SCRATCH_EN: 0
; COMPUTE_PGM_RSRC2:USER_SGPR: 2
; COMPUTE_PGM_RSRC2:TRAP_HANDLER: 0
; COMPUTE_PGM_RSRC2:TGID_X_EN: 1
; COMPUTE_PGM_RSRC2:TGID_Y_EN: 0
; COMPUTE_PGM_RSRC2:TGID_Z_EN: 0
; COMPUTE_PGM_RSRC2:TIDIG_COMP_CNT: 0
	.section	.text._Z18vector_test_kernelI15HIP_vector_typeIxLj3EELj3ELj16EEvPT_S3_,"axG",@progbits,_Z18vector_test_kernelI15HIP_vector_typeIxLj3EELj3ELj16EEvPT_S3_,comdat
	.protected	_Z18vector_test_kernelI15HIP_vector_typeIxLj3EELj3ELj16EEvPT_S3_ ; -- Begin function _Z18vector_test_kernelI15HIP_vector_typeIxLj3EELj3ELj16EEvPT_S3_
	.globl	_Z18vector_test_kernelI15HIP_vector_typeIxLj3EELj3ELj16EEvPT_S3_
	.p2align	8
	.type	_Z18vector_test_kernelI15HIP_vector_typeIxLj3EELj3ELj16EEvPT_S3_,@function
_Z18vector_test_kernelI15HIP_vector_typeIxLj3EELj3ELj16EEvPT_S3_: ; @_Z18vector_test_kernelI15HIP_vector_typeIxLj3EELj3ELj16EEvPT_S3_
; %bb.0:
	s_load_b64 s[0:1], s[0:1], 0x8
	s_bfe_u32 s2, ttmp6, 0x4000c
	s_and_b32 s3, ttmp6, 15
	s_add_co_i32 s2, s2, 1
	s_getreg_b32 s4, hwreg(HW_REG_IB_STS2, 6, 4)
	s_mul_i32 s2, ttmp9, s2
	v_mov_b64_e32 v[6:7], 0
	s_add_co_i32 s3, s3, s2
	s_cmp_eq_u32 s4, 0
	s_cselect_b32 s2, ttmp9, s3
	s_delay_alu instid0(SALU_CYCLE_1) | instskip(SKIP_1) | instid1(VALU_DEP_1)
	v_lshl_add_u32 v1, s2, 4, v0
	v_mov_b32_e32 v0, 0
	v_dual_mov_b32 v3, v0 :: v_dual_mov_b32 v2, v0
	s_wait_kmcnt 0x0
	s_delay_alu instid0(VALU_DEP_3)
	v_mad_nc_u64_u32 v[4:5], v1, 24, s[0:1]
	v_mov_b32_e32 v1, v0
	s_clause 0x1
	global_store_b128 v[4:5], v[0:3], off
	global_store_b64 v[4:5], v[6:7], off offset:16
	s_endpgm
	.section	.rodata,"a",@progbits
	.p2align	6, 0x0
	.amdhsa_kernel _Z18vector_test_kernelI15HIP_vector_typeIxLj3EELj3ELj16EEvPT_S3_
		.amdhsa_group_segment_fixed_size 0
		.amdhsa_private_segment_fixed_size 0
		.amdhsa_kernarg_size 16
		.amdhsa_user_sgpr_count 2
		.amdhsa_user_sgpr_dispatch_ptr 0
		.amdhsa_user_sgpr_queue_ptr 0
		.amdhsa_user_sgpr_kernarg_segment_ptr 1
		.amdhsa_user_sgpr_dispatch_id 0
		.amdhsa_user_sgpr_kernarg_preload_length 0
		.amdhsa_user_sgpr_kernarg_preload_offset 0
		.amdhsa_user_sgpr_private_segment_size 0
		.amdhsa_wavefront_size32 1
		.amdhsa_uses_dynamic_stack 0
		.amdhsa_enable_private_segment 0
		.amdhsa_system_sgpr_workgroup_id_x 1
		.amdhsa_system_sgpr_workgroup_id_y 0
		.amdhsa_system_sgpr_workgroup_id_z 0
		.amdhsa_system_sgpr_workgroup_info 0
		.amdhsa_system_vgpr_workitem_id 0
		.amdhsa_next_free_vgpr 8
		.amdhsa_next_free_sgpr 5
		.amdhsa_named_barrier_count 0
		.amdhsa_reserve_vcc 0
		.amdhsa_float_round_mode_32 0
		.amdhsa_float_round_mode_16_64 0
		.amdhsa_float_denorm_mode_32 3
		.amdhsa_float_denorm_mode_16_64 3
		.amdhsa_fp16_overflow 0
		.amdhsa_memory_ordered 1
		.amdhsa_forward_progress 1
		.amdhsa_inst_pref_size 1
		.amdhsa_round_robin_scheduling 0
		.amdhsa_exception_fp_ieee_invalid_op 0
		.amdhsa_exception_fp_denorm_src 0
		.amdhsa_exception_fp_ieee_div_zero 0
		.amdhsa_exception_fp_ieee_overflow 0
		.amdhsa_exception_fp_ieee_underflow 0
		.amdhsa_exception_fp_ieee_inexact 0
		.amdhsa_exception_int_div_zero 0
	.end_amdhsa_kernel
	.section	.text._Z18vector_test_kernelI15HIP_vector_typeIxLj3EELj3ELj16EEvPT_S3_,"axG",@progbits,_Z18vector_test_kernelI15HIP_vector_typeIxLj3EELj3ELj16EEvPT_S3_,comdat
.Lfunc_end28:
	.size	_Z18vector_test_kernelI15HIP_vector_typeIxLj3EELj3ELj16EEvPT_S3_, .Lfunc_end28-_Z18vector_test_kernelI15HIP_vector_typeIxLj3EELj3ELj16EEvPT_S3_
                                        ; -- End function
	.set _Z18vector_test_kernelI15HIP_vector_typeIxLj3EELj3ELj16EEvPT_S3_.num_vgpr, 8
	.set _Z18vector_test_kernelI15HIP_vector_typeIxLj3EELj3ELj16EEvPT_S3_.num_agpr, 0
	.set _Z18vector_test_kernelI15HIP_vector_typeIxLj3EELj3ELj16EEvPT_S3_.numbered_sgpr, 5
	.set _Z18vector_test_kernelI15HIP_vector_typeIxLj3EELj3ELj16EEvPT_S3_.num_named_barrier, 0
	.set _Z18vector_test_kernelI15HIP_vector_typeIxLj3EELj3ELj16EEvPT_S3_.private_seg_size, 0
	.set _Z18vector_test_kernelI15HIP_vector_typeIxLj3EELj3ELj16EEvPT_S3_.uses_vcc, 0
	.set _Z18vector_test_kernelI15HIP_vector_typeIxLj3EELj3ELj16EEvPT_S3_.uses_flat_scratch, 0
	.set _Z18vector_test_kernelI15HIP_vector_typeIxLj3EELj3ELj16EEvPT_S3_.has_dyn_sized_stack, 0
	.set _Z18vector_test_kernelI15HIP_vector_typeIxLj3EELj3ELj16EEvPT_S3_.has_recursion, 0
	.set _Z18vector_test_kernelI15HIP_vector_typeIxLj3EELj3ELj16EEvPT_S3_.has_indirect_call, 0
	.section	.AMDGPU.csdata,"",@progbits
; Kernel info:
; codeLenInByte = 124
; TotalNumSgprs: 5
; NumVgprs: 8
; ScratchSize: 0
; MemoryBound: 0
; FloatMode: 240
; IeeeMode: 1
; LDSByteSize: 0 bytes/workgroup (compile time only)
; SGPRBlocks: 0
; VGPRBlocks: 0
; NumSGPRsForWavesPerEU: 5
; NumVGPRsForWavesPerEU: 8
; NamedBarCnt: 0
; Occupancy: 16
; WaveLimiterHint : 0
; COMPUTE_PGM_RSRC2:SCRATCH_EN: 0
; COMPUTE_PGM_RSRC2:USER_SGPR: 2
; COMPUTE_PGM_RSRC2:TRAP_HANDLER: 0
; COMPUTE_PGM_RSRC2:TGID_X_EN: 1
; COMPUTE_PGM_RSRC2:TGID_Y_EN: 0
; COMPUTE_PGM_RSRC2:TGID_Z_EN: 0
; COMPUTE_PGM_RSRC2:TIDIG_COMP_CNT: 0
	.section	.text._Z18vector_test_kernelI15HIP_vector_typeImLj3EELj3ELj16EEvPT_S3_,"axG",@progbits,_Z18vector_test_kernelI15HIP_vector_typeImLj3EELj3ELj16EEvPT_S3_,comdat
	.protected	_Z18vector_test_kernelI15HIP_vector_typeImLj3EELj3ELj16EEvPT_S3_ ; -- Begin function _Z18vector_test_kernelI15HIP_vector_typeImLj3EELj3ELj16EEvPT_S3_
	.globl	_Z18vector_test_kernelI15HIP_vector_typeImLj3EELj3ELj16EEvPT_S3_
	.p2align	8
	.type	_Z18vector_test_kernelI15HIP_vector_typeImLj3EELj3ELj16EEvPT_S3_,@function
_Z18vector_test_kernelI15HIP_vector_typeImLj3EELj3ELj16EEvPT_S3_: ; @_Z18vector_test_kernelI15HIP_vector_typeImLj3EELj3ELj16EEvPT_S3_
; %bb.0:
	s_load_b64 s[0:1], s[0:1], 0x8
	s_bfe_u32 s2, ttmp6, 0x4000c
	s_and_b32 s3, ttmp6, 15
	s_add_co_i32 s2, s2, 1
	s_getreg_b32 s4, hwreg(HW_REG_IB_STS2, 6, 4)
	s_mul_i32 s2, ttmp9, s2
	v_mov_b64_e32 v[6:7], 0
	s_add_co_i32 s3, s3, s2
	s_cmp_eq_u32 s4, 0
	s_cselect_b32 s2, ttmp9, s3
	s_delay_alu instid0(SALU_CYCLE_1) | instskip(SKIP_1) | instid1(VALU_DEP_1)
	v_lshl_add_u32 v1, s2, 4, v0
	v_mov_b32_e32 v0, 0
	v_dual_mov_b32 v3, v0 :: v_dual_mov_b32 v2, v0
	s_wait_kmcnt 0x0
	s_delay_alu instid0(VALU_DEP_3)
	v_mad_nc_u64_u32 v[4:5], v1, 24, s[0:1]
	v_mov_b32_e32 v1, v0
	s_clause 0x1
	global_store_b128 v[4:5], v[0:3], off
	global_store_b64 v[4:5], v[6:7], off offset:16
	s_endpgm
	.section	.rodata,"a",@progbits
	.p2align	6, 0x0
	.amdhsa_kernel _Z18vector_test_kernelI15HIP_vector_typeImLj3EELj3ELj16EEvPT_S3_
		.amdhsa_group_segment_fixed_size 0
		.amdhsa_private_segment_fixed_size 0
		.amdhsa_kernarg_size 16
		.amdhsa_user_sgpr_count 2
		.amdhsa_user_sgpr_dispatch_ptr 0
		.amdhsa_user_sgpr_queue_ptr 0
		.amdhsa_user_sgpr_kernarg_segment_ptr 1
		.amdhsa_user_sgpr_dispatch_id 0
		.amdhsa_user_sgpr_kernarg_preload_length 0
		.amdhsa_user_sgpr_kernarg_preload_offset 0
		.amdhsa_user_sgpr_private_segment_size 0
		.amdhsa_wavefront_size32 1
		.amdhsa_uses_dynamic_stack 0
		.amdhsa_enable_private_segment 0
		.amdhsa_system_sgpr_workgroup_id_x 1
		.amdhsa_system_sgpr_workgroup_id_y 0
		.amdhsa_system_sgpr_workgroup_id_z 0
		.amdhsa_system_sgpr_workgroup_info 0
		.amdhsa_system_vgpr_workitem_id 0
		.amdhsa_next_free_vgpr 8
		.amdhsa_next_free_sgpr 5
		.amdhsa_named_barrier_count 0
		.amdhsa_reserve_vcc 0
		.amdhsa_float_round_mode_32 0
		.amdhsa_float_round_mode_16_64 0
		.amdhsa_float_denorm_mode_32 3
		.amdhsa_float_denorm_mode_16_64 3
		.amdhsa_fp16_overflow 0
		.amdhsa_memory_ordered 1
		.amdhsa_forward_progress 1
		.amdhsa_inst_pref_size 1
		.amdhsa_round_robin_scheduling 0
		.amdhsa_exception_fp_ieee_invalid_op 0
		.amdhsa_exception_fp_denorm_src 0
		.amdhsa_exception_fp_ieee_div_zero 0
		.amdhsa_exception_fp_ieee_overflow 0
		.amdhsa_exception_fp_ieee_underflow 0
		.amdhsa_exception_fp_ieee_inexact 0
		.amdhsa_exception_int_div_zero 0
	.end_amdhsa_kernel
	.section	.text._Z18vector_test_kernelI15HIP_vector_typeImLj3EELj3ELj16EEvPT_S3_,"axG",@progbits,_Z18vector_test_kernelI15HIP_vector_typeImLj3EELj3ELj16EEvPT_S3_,comdat
.Lfunc_end29:
	.size	_Z18vector_test_kernelI15HIP_vector_typeImLj3EELj3ELj16EEvPT_S3_, .Lfunc_end29-_Z18vector_test_kernelI15HIP_vector_typeImLj3EELj3ELj16EEvPT_S3_
                                        ; -- End function
	.set _Z18vector_test_kernelI15HIP_vector_typeImLj3EELj3ELj16EEvPT_S3_.num_vgpr, 8
	.set _Z18vector_test_kernelI15HIP_vector_typeImLj3EELj3ELj16EEvPT_S3_.num_agpr, 0
	.set _Z18vector_test_kernelI15HIP_vector_typeImLj3EELj3ELj16EEvPT_S3_.numbered_sgpr, 5
	.set _Z18vector_test_kernelI15HIP_vector_typeImLj3EELj3ELj16EEvPT_S3_.num_named_barrier, 0
	.set _Z18vector_test_kernelI15HIP_vector_typeImLj3EELj3ELj16EEvPT_S3_.private_seg_size, 0
	.set _Z18vector_test_kernelI15HIP_vector_typeImLj3EELj3ELj16EEvPT_S3_.uses_vcc, 0
	.set _Z18vector_test_kernelI15HIP_vector_typeImLj3EELj3ELj16EEvPT_S3_.uses_flat_scratch, 0
	.set _Z18vector_test_kernelI15HIP_vector_typeImLj3EELj3ELj16EEvPT_S3_.has_dyn_sized_stack, 0
	.set _Z18vector_test_kernelI15HIP_vector_typeImLj3EELj3ELj16EEvPT_S3_.has_recursion, 0
	.set _Z18vector_test_kernelI15HIP_vector_typeImLj3EELj3ELj16EEvPT_S3_.has_indirect_call, 0
	.section	.AMDGPU.csdata,"",@progbits
; Kernel info:
; codeLenInByte = 124
; TotalNumSgprs: 5
; NumVgprs: 8
; ScratchSize: 0
; MemoryBound: 0
; FloatMode: 240
; IeeeMode: 1
; LDSByteSize: 0 bytes/workgroup (compile time only)
; SGPRBlocks: 0
; VGPRBlocks: 0
; NumSGPRsForWavesPerEU: 5
; NumVGPRsForWavesPerEU: 8
; NamedBarCnt: 0
; Occupancy: 16
; WaveLimiterHint : 0
; COMPUTE_PGM_RSRC2:SCRATCH_EN: 0
; COMPUTE_PGM_RSRC2:USER_SGPR: 2
; COMPUTE_PGM_RSRC2:TRAP_HANDLER: 0
; COMPUTE_PGM_RSRC2:TGID_X_EN: 1
; COMPUTE_PGM_RSRC2:TGID_Y_EN: 0
; COMPUTE_PGM_RSRC2:TGID_Z_EN: 0
; COMPUTE_PGM_RSRC2:TIDIG_COMP_CNT: 0
	.section	.text._Z18vector_test_kernelI15HIP_vector_typeIlLj3EELj3ELj16EEvPT_S3_,"axG",@progbits,_Z18vector_test_kernelI15HIP_vector_typeIlLj3EELj3ELj16EEvPT_S3_,comdat
	.protected	_Z18vector_test_kernelI15HIP_vector_typeIlLj3EELj3ELj16EEvPT_S3_ ; -- Begin function _Z18vector_test_kernelI15HIP_vector_typeIlLj3EELj3ELj16EEvPT_S3_
	.globl	_Z18vector_test_kernelI15HIP_vector_typeIlLj3EELj3ELj16EEvPT_S3_
	.p2align	8
	.type	_Z18vector_test_kernelI15HIP_vector_typeIlLj3EELj3ELj16EEvPT_S3_,@function
_Z18vector_test_kernelI15HIP_vector_typeIlLj3EELj3ELj16EEvPT_S3_: ; @_Z18vector_test_kernelI15HIP_vector_typeIlLj3EELj3ELj16EEvPT_S3_
; %bb.0:
	s_load_b64 s[0:1], s[0:1], 0x8
	s_bfe_u32 s2, ttmp6, 0x4000c
	s_and_b32 s3, ttmp6, 15
	s_add_co_i32 s2, s2, 1
	s_getreg_b32 s4, hwreg(HW_REG_IB_STS2, 6, 4)
	s_mul_i32 s2, ttmp9, s2
	v_mov_b64_e32 v[6:7], 0
	s_add_co_i32 s3, s3, s2
	s_cmp_eq_u32 s4, 0
	s_cselect_b32 s2, ttmp9, s3
	s_delay_alu instid0(SALU_CYCLE_1) | instskip(SKIP_1) | instid1(VALU_DEP_1)
	v_lshl_add_u32 v1, s2, 4, v0
	v_mov_b32_e32 v0, 0
	v_dual_mov_b32 v3, v0 :: v_dual_mov_b32 v2, v0
	s_wait_kmcnt 0x0
	s_delay_alu instid0(VALU_DEP_3)
	v_mad_nc_u64_u32 v[4:5], v1, 24, s[0:1]
	v_mov_b32_e32 v1, v0
	s_clause 0x1
	global_store_b128 v[4:5], v[0:3], off
	global_store_b64 v[4:5], v[6:7], off offset:16
	s_endpgm
	.section	.rodata,"a",@progbits
	.p2align	6, 0x0
	.amdhsa_kernel _Z18vector_test_kernelI15HIP_vector_typeIlLj3EELj3ELj16EEvPT_S3_
		.amdhsa_group_segment_fixed_size 0
		.amdhsa_private_segment_fixed_size 0
		.amdhsa_kernarg_size 16
		.amdhsa_user_sgpr_count 2
		.amdhsa_user_sgpr_dispatch_ptr 0
		.amdhsa_user_sgpr_queue_ptr 0
		.amdhsa_user_sgpr_kernarg_segment_ptr 1
		.amdhsa_user_sgpr_dispatch_id 0
		.amdhsa_user_sgpr_kernarg_preload_length 0
		.amdhsa_user_sgpr_kernarg_preload_offset 0
		.amdhsa_user_sgpr_private_segment_size 0
		.amdhsa_wavefront_size32 1
		.amdhsa_uses_dynamic_stack 0
		.amdhsa_enable_private_segment 0
		.amdhsa_system_sgpr_workgroup_id_x 1
		.amdhsa_system_sgpr_workgroup_id_y 0
		.amdhsa_system_sgpr_workgroup_id_z 0
		.amdhsa_system_sgpr_workgroup_info 0
		.amdhsa_system_vgpr_workitem_id 0
		.amdhsa_next_free_vgpr 8
		.amdhsa_next_free_sgpr 5
		.amdhsa_named_barrier_count 0
		.amdhsa_reserve_vcc 0
		.amdhsa_float_round_mode_32 0
		.amdhsa_float_round_mode_16_64 0
		.amdhsa_float_denorm_mode_32 3
		.amdhsa_float_denorm_mode_16_64 3
		.amdhsa_fp16_overflow 0
		.amdhsa_memory_ordered 1
		.amdhsa_forward_progress 1
		.amdhsa_inst_pref_size 1
		.amdhsa_round_robin_scheduling 0
		.amdhsa_exception_fp_ieee_invalid_op 0
		.amdhsa_exception_fp_denorm_src 0
		.amdhsa_exception_fp_ieee_div_zero 0
		.amdhsa_exception_fp_ieee_overflow 0
		.amdhsa_exception_fp_ieee_underflow 0
		.amdhsa_exception_fp_ieee_inexact 0
		.amdhsa_exception_int_div_zero 0
	.end_amdhsa_kernel
	.section	.text._Z18vector_test_kernelI15HIP_vector_typeIlLj3EELj3ELj16EEvPT_S3_,"axG",@progbits,_Z18vector_test_kernelI15HIP_vector_typeIlLj3EELj3ELj16EEvPT_S3_,comdat
.Lfunc_end30:
	.size	_Z18vector_test_kernelI15HIP_vector_typeIlLj3EELj3ELj16EEvPT_S3_, .Lfunc_end30-_Z18vector_test_kernelI15HIP_vector_typeIlLj3EELj3ELj16EEvPT_S3_
                                        ; -- End function
	.set _Z18vector_test_kernelI15HIP_vector_typeIlLj3EELj3ELj16EEvPT_S3_.num_vgpr, 8
	.set _Z18vector_test_kernelI15HIP_vector_typeIlLj3EELj3ELj16EEvPT_S3_.num_agpr, 0
	.set _Z18vector_test_kernelI15HIP_vector_typeIlLj3EELj3ELj16EEvPT_S3_.numbered_sgpr, 5
	.set _Z18vector_test_kernelI15HIP_vector_typeIlLj3EELj3ELj16EEvPT_S3_.num_named_barrier, 0
	.set _Z18vector_test_kernelI15HIP_vector_typeIlLj3EELj3ELj16EEvPT_S3_.private_seg_size, 0
	.set _Z18vector_test_kernelI15HIP_vector_typeIlLj3EELj3ELj16EEvPT_S3_.uses_vcc, 0
	.set _Z18vector_test_kernelI15HIP_vector_typeIlLj3EELj3ELj16EEvPT_S3_.uses_flat_scratch, 0
	.set _Z18vector_test_kernelI15HIP_vector_typeIlLj3EELj3ELj16EEvPT_S3_.has_dyn_sized_stack, 0
	.set _Z18vector_test_kernelI15HIP_vector_typeIlLj3EELj3ELj16EEvPT_S3_.has_recursion, 0
	.set _Z18vector_test_kernelI15HIP_vector_typeIlLj3EELj3ELj16EEvPT_S3_.has_indirect_call, 0
	.section	.AMDGPU.csdata,"",@progbits
; Kernel info:
; codeLenInByte = 124
; TotalNumSgprs: 5
; NumVgprs: 8
; ScratchSize: 0
; MemoryBound: 0
; FloatMode: 240
; IeeeMode: 1
; LDSByteSize: 0 bytes/workgroup (compile time only)
; SGPRBlocks: 0
; VGPRBlocks: 0
; NumSGPRsForWavesPerEU: 5
; NumVGPRsForWavesPerEU: 8
; NamedBarCnt: 0
; Occupancy: 16
; WaveLimiterHint : 0
; COMPUTE_PGM_RSRC2:SCRATCH_EN: 0
; COMPUTE_PGM_RSRC2:USER_SGPR: 2
; COMPUTE_PGM_RSRC2:TRAP_HANDLER: 0
; COMPUTE_PGM_RSRC2:TGID_X_EN: 1
; COMPUTE_PGM_RSRC2:TGID_Y_EN: 0
; COMPUTE_PGM_RSRC2:TGID_Z_EN: 0
; COMPUTE_PGM_RSRC2:TIDIG_COMP_CNT: 0
	.section	.text._Z18vector_test_kernelI15HIP_vector_typeIjLj3EELj3ELj16EEvPT_S3_,"axG",@progbits,_Z18vector_test_kernelI15HIP_vector_typeIjLj3EELj3ELj16EEvPT_S3_,comdat
	.protected	_Z18vector_test_kernelI15HIP_vector_typeIjLj3EELj3ELj16EEvPT_S3_ ; -- Begin function _Z18vector_test_kernelI15HIP_vector_typeIjLj3EELj3ELj16EEvPT_S3_
	.globl	_Z18vector_test_kernelI15HIP_vector_typeIjLj3EELj3ELj16EEvPT_S3_
	.p2align	8
	.type	_Z18vector_test_kernelI15HIP_vector_typeIjLj3EELj3ELj16EEvPT_S3_,@function
_Z18vector_test_kernelI15HIP_vector_typeIjLj3EELj3ELj16EEvPT_S3_: ; @_Z18vector_test_kernelI15HIP_vector_typeIjLj3EELj3ELj16EEvPT_S3_
; %bb.0:
	s_load_b64 s[0:1], s[0:1], 0x8
	s_bfe_u32 s2, ttmp6, 0x4000c
	s_and_b32 s3, ttmp6, 15
	s_add_co_i32 s2, s2, 1
	s_getreg_b32 s4, hwreg(HW_REG_IB_STS2, 6, 4)
	s_mul_i32 s2, ttmp9, s2
	s_delay_alu instid0(SALU_CYCLE_1) | instskip(SKIP_2) | instid1(SALU_CYCLE_1)
	s_add_co_i32 s3, s3, s2
	s_cmp_eq_u32 s4, 0
	s_cselect_b32 s2, ttmp9, s3
	v_lshl_add_u32 v0, s2, 4, v0
	s_wait_kmcnt 0x0
	s_delay_alu instid0(VALU_DEP_1) | instskip(SKIP_1) | instid1(VALU_DEP_1)
	v_mad_nc_u64_u32 v[4:5], v0, 12, s[0:1]
	v_mov_b32_e32 v0, 0
	v_dual_mov_b32 v1, v0 :: v_dual_mov_b32 v2, v0
	global_store_b96 v[4:5], v[0:2], off
	s_endpgm
	.section	.rodata,"a",@progbits
	.p2align	6, 0x0
	.amdhsa_kernel _Z18vector_test_kernelI15HIP_vector_typeIjLj3EELj3ELj16EEvPT_S3_
		.amdhsa_group_segment_fixed_size 0
		.amdhsa_private_segment_fixed_size 0
		.amdhsa_kernarg_size 16
		.amdhsa_user_sgpr_count 2
		.amdhsa_user_sgpr_dispatch_ptr 0
		.amdhsa_user_sgpr_queue_ptr 0
		.amdhsa_user_sgpr_kernarg_segment_ptr 1
		.amdhsa_user_sgpr_dispatch_id 0
		.amdhsa_user_sgpr_kernarg_preload_length 0
		.amdhsa_user_sgpr_kernarg_preload_offset 0
		.amdhsa_user_sgpr_private_segment_size 0
		.amdhsa_wavefront_size32 1
		.amdhsa_uses_dynamic_stack 0
		.amdhsa_enable_private_segment 0
		.amdhsa_system_sgpr_workgroup_id_x 1
		.amdhsa_system_sgpr_workgroup_id_y 0
		.amdhsa_system_sgpr_workgroup_id_z 0
		.amdhsa_system_sgpr_workgroup_info 0
		.amdhsa_system_vgpr_workitem_id 0
		.amdhsa_next_free_vgpr 6
		.amdhsa_next_free_sgpr 5
		.amdhsa_named_barrier_count 0
		.amdhsa_reserve_vcc 0
		.amdhsa_float_round_mode_32 0
		.amdhsa_float_round_mode_16_64 0
		.amdhsa_float_denorm_mode_32 3
		.amdhsa_float_denorm_mode_16_64 3
		.amdhsa_fp16_overflow 0
		.amdhsa_memory_ordered 1
		.amdhsa_forward_progress 1
		.amdhsa_inst_pref_size 1
		.amdhsa_round_robin_scheduling 0
		.amdhsa_exception_fp_ieee_invalid_op 0
		.amdhsa_exception_fp_denorm_src 0
		.amdhsa_exception_fp_ieee_div_zero 0
		.amdhsa_exception_fp_ieee_overflow 0
		.amdhsa_exception_fp_ieee_underflow 0
		.amdhsa_exception_fp_ieee_inexact 0
		.amdhsa_exception_int_div_zero 0
	.end_amdhsa_kernel
	.section	.text._Z18vector_test_kernelI15HIP_vector_typeIjLj3EELj3ELj16EEvPT_S3_,"axG",@progbits,_Z18vector_test_kernelI15HIP_vector_typeIjLj3EELj3ELj16EEvPT_S3_,comdat
.Lfunc_end31:
	.size	_Z18vector_test_kernelI15HIP_vector_typeIjLj3EELj3ELj16EEvPT_S3_, .Lfunc_end31-_Z18vector_test_kernelI15HIP_vector_typeIjLj3EELj3ELj16EEvPT_S3_
                                        ; -- End function
	.set _Z18vector_test_kernelI15HIP_vector_typeIjLj3EELj3ELj16EEvPT_S3_.num_vgpr, 6
	.set _Z18vector_test_kernelI15HIP_vector_typeIjLj3EELj3ELj16EEvPT_S3_.num_agpr, 0
	.set _Z18vector_test_kernelI15HIP_vector_typeIjLj3EELj3ELj16EEvPT_S3_.numbered_sgpr, 5
	.set _Z18vector_test_kernelI15HIP_vector_typeIjLj3EELj3ELj16EEvPT_S3_.num_named_barrier, 0
	.set _Z18vector_test_kernelI15HIP_vector_typeIjLj3EELj3ELj16EEvPT_S3_.private_seg_size, 0
	.set _Z18vector_test_kernelI15HIP_vector_typeIjLj3EELj3ELj16EEvPT_S3_.uses_vcc, 0
	.set _Z18vector_test_kernelI15HIP_vector_typeIjLj3EELj3ELj16EEvPT_S3_.uses_flat_scratch, 0
	.set _Z18vector_test_kernelI15HIP_vector_typeIjLj3EELj3ELj16EEvPT_S3_.has_dyn_sized_stack, 0
	.set _Z18vector_test_kernelI15HIP_vector_typeIjLj3EELj3ELj16EEvPT_S3_.has_recursion, 0
	.set _Z18vector_test_kernelI15HIP_vector_typeIjLj3EELj3ELj16EEvPT_S3_.has_indirect_call, 0
	.section	.AMDGPU.csdata,"",@progbits
; Kernel info:
; codeLenInByte = 100
; TotalNumSgprs: 5
; NumVgprs: 6
; ScratchSize: 0
; MemoryBound: 0
; FloatMode: 240
; IeeeMode: 1
; LDSByteSize: 0 bytes/workgroup (compile time only)
; SGPRBlocks: 0
; VGPRBlocks: 0
; NumSGPRsForWavesPerEU: 5
; NumVGPRsForWavesPerEU: 6
; NamedBarCnt: 0
; Occupancy: 16
; WaveLimiterHint : 0
; COMPUTE_PGM_RSRC2:SCRATCH_EN: 0
; COMPUTE_PGM_RSRC2:USER_SGPR: 2
; COMPUTE_PGM_RSRC2:TRAP_HANDLER: 0
; COMPUTE_PGM_RSRC2:TGID_X_EN: 1
; COMPUTE_PGM_RSRC2:TGID_Y_EN: 0
; COMPUTE_PGM_RSRC2:TGID_Z_EN: 0
; COMPUTE_PGM_RSRC2:TIDIG_COMP_CNT: 0
	.section	.text._Z18vector_test_kernelI15HIP_vector_typeIiLj3EELj3ELj16EEvPT_S3_,"axG",@progbits,_Z18vector_test_kernelI15HIP_vector_typeIiLj3EELj3ELj16EEvPT_S3_,comdat
	.protected	_Z18vector_test_kernelI15HIP_vector_typeIiLj3EELj3ELj16EEvPT_S3_ ; -- Begin function _Z18vector_test_kernelI15HIP_vector_typeIiLj3EELj3ELj16EEvPT_S3_
	.globl	_Z18vector_test_kernelI15HIP_vector_typeIiLj3EELj3ELj16EEvPT_S3_
	.p2align	8
	.type	_Z18vector_test_kernelI15HIP_vector_typeIiLj3EELj3ELj16EEvPT_S3_,@function
_Z18vector_test_kernelI15HIP_vector_typeIiLj3EELj3ELj16EEvPT_S3_: ; @_Z18vector_test_kernelI15HIP_vector_typeIiLj3EELj3ELj16EEvPT_S3_
; %bb.0:
	s_load_b64 s[0:1], s[0:1], 0x8
	s_bfe_u32 s2, ttmp6, 0x4000c
	s_and_b32 s3, ttmp6, 15
	s_add_co_i32 s2, s2, 1
	s_getreg_b32 s4, hwreg(HW_REG_IB_STS2, 6, 4)
	s_mul_i32 s2, ttmp9, s2
	s_delay_alu instid0(SALU_CYCLE_1) | instskip(SKIP_2) | instid1(SALU_CYCLE_1)
	s_add_co_i32 s3, s3, s2
	s_cmp_eq_u32 s4, 0
	s_cselect_b32 s2, ttmp9, s3
	v_lshl_add_u32 v0, s2, 4, v0
	s_wait_kmcnt 0x0
	s_delay_alu instid0(VALU_DEP_1) | instskip(SKIP_1) | instid1(VALU_DEP_1)
	v_mad_nc_u64_u32 v[4:5], v0, 12, s[0:1]
	v_mov_b32_e32 v0, 0
	v_dual_mov_b32 v1, v0 :: v_dual_mov_b32 v2, v0
	global_store_b96 v[4:5], v[0:2], off
	s_endpgm
	.section	.rodata,"a",@progbits
	.p2align	6, 0x0
	.amdhsa_kernel _Z18vector_test_kernelI15HIP_vector_typeIiLj3EELj3ELj16EEvPT_S3_
		.amdhsa_group_segment_fixed_size 0
		.amdhsa_private_segment_fixed_size 0
		.amdhsa_kernarg_size 16
		.amdhsa_user_sgpr_count 2
		.amdhsa_user_sgpr_dispatch_ptr 0
		.amdhsa_user_sgpr_queue_ptr 0
		.amdhsa_user_sgpr_kernarg_segment_ptr 1
		.amdhsa_user_sgpr_dispatch_id 0
		.amdhsa_user_sgpr_kernarg_preload_length 0
		.amdhsa_user_sgpr_kernarg_preload_offset 0
		.amdhsa_user_sgpr_private_segment_size 0
		.amdhsa_wavefront_size32 1
		.amdhsa_uses_dynamic_stack 0
		.amdhsa_enable_private_segment 0
		.amdhsa_system_sgpr_workgroup_id_x 1
		.amdhsa_system_sgpr_workgroup_id_y 0
		.amdhsa_system_sgpr_workgroup_id_z 0
		.amdhsa_system_sgpr_workgroup_info 0
		.amdhsa_system_vgpr_workitem_id 0
		.amdhsa_next_free_vgpr 6
		.amdhsa_next_free_sgpr 5
		.amdhsa_named_barrier_count 0
		.amdhsa_reserve_vcc 0
		.amdhsa_float_round_mode_32 0
		.amdhsa_float_round_mode_16_64 0
		.amdhsa_float_denorm_mode_32 3
		.amdhsa_float_denorm_mode_16_64 3
		.amdhsa_fp16_overflow 0
		.amdhsa_memory_ordered 1
		.amdhsa_forward_progress 1
		.amdhsa_inst_pref_size 1
		.amdhsa_round_robin_scheduling 0
		.amdhsa_exception_fp_ieee_invalid_op 0
		.amdhsa_exception_fp_denorm_src 0
		.amdhsa_exception_fp_ieee_div_zero 0
		.amdhsa_exception_fp_ieee_overflow 0
		.amdhsa_exception_fp_ieee_underflow 0
		.amdhsa_exception_fp_ieee_inexact 0
		.amdhsa_exception_int_div_zero 0
	.end_amdhsa_kernel
	.section	.text._Z18vector_test_kernelI15HIP_vector_typeIiLj3EELj3ELj16EEvPT_S3_,"axG",@progbits,_Z18vector_test_kernelI15HIP_vector_typeIiLj3EELj3ELj16EEvPT_S3_,comdat
.Lfunc_end32:
	.size	_Z18vector_test_kernelI15HIP_vector_typeIiLj3EELj3ELj16EEvPT_S3_, .Lfunc_end32-_Z18vector_test_kernelI15HIP_vector_typeIiLj3EELj3ELj16EEvPT_S3_
                                        ; -- End function
	.set _Z18vector_test_kernelI15HIP_vector_typeIiLj3EELj3ELj16EEvPT_S3_.num_vgpr, 6
	.set _Z18vector_test_kernelI15HIP_vector_typeIiLj3EELj3ELj16EEvPT_S3_.num_agpr, 0
	.set _Z18vector_test_kernelI15HIP_vector_typeIiLj3EELj3ELj16EEvPT_S3_.numbered_sgpr, 5
	.set _Z18vector_test_kernelI15HIP_vector_typeIiLj3EELj3ELj16EEvPT_S3_.num_named_barrier, 0
	.set _Z18vector_test_kernelI15HIP_vector_typeIiLj3EELj3ELj16EEvPT_S3_.private_seg_size, 0
	.set _Z18vector_test_kernelI15HIP_vector_typeIiLj3EELj3ELj16EEvPT_S3_.uses_vcc, 0
	.set _Z18vector_test_kernelI15HIP_vector_typeIiLj3EELj3ELj16EEvPT_S3_.uses_flat_scratch, 0
	.set _Z18vector_test_kernelI15HIP_vector_typeIiLj3EELj3ELj16EEvPT_S3_.has_dyn_sized_stack, 0
	.set _Z18vector_test_kernelI15HIP_vector_typeIiLj3EELj3ELj16EEvPT_S3_.has_recursion, 0
	.set _Z18vector_test_kernelI15HIP_vector_typeIiLj3EELj3ELj16EEvPT_S3_.has_indirect_call, 0
	.section	.AMDGPU.csdata,"",@progbits
; Kernel info:
; codeLenInByte = 100
; TotalNumSgprs: 5
; NumVgprs: 6
; ScratchSize: 0
; MemoryBound: 0
; FloatMode: 240
; IeeeMode: 1
; LDSByteSize: 0 bytes/workgroup (compile time only)
; SGPRBlocks: 0
; VGPRBlocks: 0
; NumSGPRsForWavesPerEU: 5
; NumVGPRsForWavesPerEU: 6
; NamedBarCnt: 0
; Occupancy: 16
; WaveLimiterHint : 0
; COMPUTE_PGM_RSRC2:SCRATCH_EN: 0
; COMPUTE_PGM_RSRC2:USER_SGPR: 2
; COMPUTE_PGM_RSRC2:TRAP_HANDLER: 0
; COMPUTE_PGM_RSRC2:TGID_X_EN: 1
; COMPUTE_PGM_RSRC2:TGID_Y_EN: 0
; COMPUTE_PGM_RSRC2:TGID_Z_EN: 0
; COMPUTE_PGM_RSRC2:TIDIG_COMP_CNT: 0
	.section	.text._Z18vector_test_kernelI15HIP_vector_typeItLj3EELj3ELj16EEvPT_S3_,"axG",@progbits,_Z18vector_test_kernelI15HIP_vector_typeItLj3EELj3ELj16EEvPT_S3_,comdat
	.protected	_Z18vector_test_kernelI15HIP_vector_typeItLj3EELj3ELj16EEvPT_S3_ ; -- Begin function _Z18vector_test_kernelI15HIP_vector_typeItLj3EELj3ELj16EEvPT_S3_
	.globl	_Z18vector_test_kernelI15HIP_vector_typeItLj3EELj3ELj16EEvPT_S3_
	.p2align	8
	.type	_Z18vector_test_kernelI15HIP_vector_typeItLj3EELj3ELj16EEvPT_S3_,@function
_Z18vector_test_kernelI15HIP_vector_typeItLj3EELj3ELj16EEvPT_S3_: ; @_Z18vector_test_kernelI15HIP_vector_typeItLj3EELj3ELj16EEvPT_S3_
; %bb.0:
	s_load_b64 s[0:1], s[0:1], 0x8
	s_bfe_u32 s2, ttmp6, 0x4000c
	s_and_b32 s3, ttmp6, 15
	s_add_co_i32 s2, s2, 1
	s_getreg_b32 s4, hwreg(HW_REG_IB_STS2, 6, 4)
	s_mul_i32 s2, ttmp9, s2
	v_mov_b32_e32 v2, 0
	s_add_co_i32 s3, s3, s2
	s_cmp_eq_u32 s4, 0
	s_cselect_b32 s2, ttmp9, s3
	s_delay_alu instid0(SALU_CYCLE_1) | instskip(SKIP_1) | instid1(VALU_DEP_1)
	v_lshl_add_u32 v0, s2, 4, v0
	s_wait_kmcnt 0x0
	v_mad_nc_u64_u32 v[0:1], v0, 6, s[0:1]
	s_clause 0x1
	global_store_b32 v[0:1], v2, off
	global_store_b16 v[0:1], v2, off offset:4
	s_endpgm
	.section	.rodata,"a",@progbits
	.p2align	6, 0x0
	.amdhsa_kernel _Z18vector_test_kernelI15HIP_vector_typeItLj3EELj3ELj16EEvPT_S3_
		.amdhsa_group_segment_fixed_size 0
		.amdhsa_private_segment_fixed_size 0
		.amdhsa_kernarg_size 16
		.amdhsa_user_sgpr_count 2
		.amdhsa_user_sgpr_dispatch_ptr 0
		.amdhsa_user_sgpr_queue_ptr 0
		.amdhsa_user_sgpr_kernarg_segment_ptr 1
		.amdhsa_user_sgpr_dispatch_id 0
		.amdhsa_user_sgpr_kernarg_preload_length 0
		.amdhsa_user_sgpr_kernarg_preload_offset 0
		.amdhsa_user_sgpr_private_segment_size 0
		.amdhsa_wavefront_size32 1
		.amdhsa_uses_dynamic_stack 0
		.amdhsa_enable_private_segment 0
		.amdhsa_system_sgpr_workgroup_id_x 1
		.amdhsa_system_sgpr_workgroup_id_y 0
		.amdhsa_system_sgpr_workgroup_id_z 0
		.amdhsa_system_sgpr_workgroup_info 0
		.amdhsa_system_vgpr_workitem_id 0
		.amdhsa_next_free_vgpr 3
		.amdhsa_next_free_sgpr 5
		.amdhsa_named_barrier_count 0
		.amdhsa_reserve_vcc 0
		.amdhsa_float_round_mode_32 0
		.amdhsa_float_round_mode_16_64 0
		.amdhsa_float_denorm_mode_32 3
		.amdhsa_float_denorm_mode_16_64 3
		.amdhsa_fp16_overflow 0
		.amdhsa_memory_ordered 1
		.amdhsa_forward_progress 1
		.amdhsa_inst_pref_size 1
		.amdhsa_round_robin_scheduling 0
		.amdhsa_exception_fp_ieee_invalid_op 0
		.amdhsa_exception_fp_denorm_src 0
		.amdhsa_exception_fp_ieee_div_zero 0
		.amdhsa_exception_fp_ieee_overflow 0
		.amdhsa_exception_fp_ieee_underflow 0
		.amdhsa_exception_fp_ieee_inexact 0
		.amdhsa_exception_int_div_zero 0
	.end_amdhsa_kernel
	.section	.text._Z18vector_test_kernelI15HIP_vector_typeItLj3EELj3ELj16EEvPT_S3_,"axG",@progbits,_Z18vector_test_kernelI15HIP_vector_typeItLj3EELj3ELj16EEvPT_S3_,comdat
.Lfunc_end33:
	.size	_Z18vector_test_kernelI15HIP_vector_typeItLj3EELj3ELj16EEvPT_S3_, .Lfunc_end33-_Z18vector_test_kernelI15HIP_vector_typeItLj3EELj3ELj16EEvPT_S3_
                                        ; -- End function
	.set _Z18vector_test_kernelI15HIP_vector_typeItLj3EELj3ELj16EEvPT_S3_.num_vgpr, 3
	.set _Z18vector_test_kernelI15HIP_vector_typeItLj3EELj3ELj16EEvPT_S3_.num_agpr, 0
	.set _Z18vector_test_kernelI15HIP_vector_typeItLj3EELj3ELj16EEvPT_S3_.numbered_sgpr, 5
	.set _Z18vector_test_kernelI15HIP_vector_typeItLj3EELj3ELj16EEvPT_S3_.num_named_barrier, 0
	.set _Z18vector_test_kernelI15HIP_vector_typeItLj3EELj3ELj16EEvPT_S3_.private_seg_size, 0
	.set _Z18vector_test_kernelI15HIP_vector_typeItLj3EELj3ELj16EEvPT_S3_.uses_vcc, 0
	.set _Z18vector_test_kernelI15HIP_vector_typeItLj3EELj3ELj16EEvPT_S3_.uses_flat_scratch, 0
	.set _Z18vector_test_kernelI15HIP_vector_typeItLj3EELj3ELj16EEvPT_S3_.has_dyn_sized_stack, 0
	.set _Z18vector_test_kernelI15HIP_vector_typeItLj3EELj3ELj16EEvPT_S3_.has_recursion, 0
	.set _Z18vector_test_kernelI15HIP_vector_typeItLj3EELj3ELj16EEvPT_S3_.has_indirect_call, 0
	.section	.AMDGPU.csdata,"",@progbits
; Kernel info:
; codeLenInByte = 104
; TotalNumSgprs: 5
; NumVgprs: 3
; ScratchSize: 0
; MemoryBound: 0
; FloatMode: 240
; IeeeMode: 1
; LDSByteSize: 0 bytes/workgroup (compile time only)
; SGPRBlocks: 0
; VGPRBlocks: 0
; NumSGPRsForWavesPerEU: 5
; NumVGPRsForWavesPerEU: 3
; NamedBarCnt: 0
; Occupancy: 16
; WaveLimiterHint : 0
; COMPUTE_PGM_RSRC2:SCRATCH_EN: 0
; COMPUTE_PGM_RSRC2:USER_SGPR: 2
; COMPUTE_PGM_RSRC2:TRAP_HANDLER: 0
; COMPUTE_PGM_RSRC2:TGID_X_EN: 1
; COMPUTE_PGM_RSRC2:TGID_Y_EN: 0
; COMPUTE_PGM_RSRC2:TGID_Z_EN: 0
; COMPUTE_PGM_RSRC2:TIDIG_COMP_CNT: 0
	.section	.text._Z18vector_test_kernelI15HIP_vector_typeIsLj3EELj3ELj16EEvPT_S3_,"axG",@progbits,_Z18vector_test_kernelI15HIP_vector_typeIsLj3EELj3ELj16EEvPT_S3_,comdat
	.protected	_Z18vector_test_kernelI15HIP_vector_typeIsLj3EELj3ELj16EEvPT_S3_ ; -- Begin function _Z18vector_test_kernelI15HIP_vector_typeIsLj3EELj3ELj16EEvPT_S3_
	.globl	_Z18vector_test_kernelI15HIP_vector_typeIsLj3EELj3ELj16EEvPT_S3_
	.p2align	8
	.type	_Z18vector_test_kernelI15HIP_vector_typeIsLj3EELj3ELj16EEvPT_S3_,@function
_Z18vector_test_kernelI15HIP_vector_typeIsLj3EELj3ELj16EEvPT_S3_: ; @_Z18vector_test_kernelI15HIP_vector_typeIsLj3EELj3ELj16EEvPT_S3_
; %bb.0:
	s_load_b64 s[0:1], s[0:1], 0x8
	s_bfe_u32 s2, ttmp6, 0x4000c
	s_and_b32 s3, ttmp6, 15
	s_add_co_i32 s2, s2, 1
	s_getreg_b32 s4, hwreg(HW_REG_IB_STS2, 6, 4)
	s_mul_i32 s2, ttmp9, s2
	v_mov_b32_e32 v2, 0
	s_add_co_i32 s3, s3, s2
	s_cmp_eq_u32 s4, 0
	s_cselect_b32 s2, ttmp9, s3
	s_delay_alu instid0(SALU_CYCLE_1) | instskip(SKIP_1) | instid1(VALU_DEP_1)
	v_lshl_add_u32 v0, s2, 4, v0
	s_wait_kmcnt 0x0
	v_mad_nc_u64_u32 v[0:1], v0, 6, s[0:1]
	s_clause 0x1
	global_store_b32 v[0:1], v2, off
	global_store_b16 v[0:1], v2, off offset:4
	s_endpgm
	.section	.rodata,"a",@progbits
	.p2align	6, 0x0
	.amdhsa_kernel _Z18vector_test_kernelI15HIP_vector_typeIsLj3EELj3ELj16EEvPT_S3_
		.amdhsa_group_segment_fixed_size 0
		.amdhsa_private_segment_fixed_size 0
		.amdhsa_kernarg_size 16
		.amdhsa_user_sgpr_count 2
		.amdhsa_user_sgpr_dispatch_ptr 0
		.amdhsa_user_sgpr_queue_ptr 0
		.amdhsa_user_sgpr_kernarg_segment_ptr 1
		.amdhsa_user_sgpr_dispatch_id 0
		.amdhsa_user_sgpr_kernarg_preload_length 0
		.amdhsa_user_sgpr_kernarg_preload_offset 0
		.amdhsa_user_sgpr_private_segment_size 0
		.amdhsa_wavefront_size32 1
		.amdhsa_uses_dynamic_stack 0
		.amdhsa_enable_private_segment 0
		.amdhsa_system_sgpr_workgroup_id_x 1
		.amdhsa_system_sgpr_workgroup_id_y 0
		.amdhsa_system_sgpr_workgroup_id_z 0
		.amdhsa_system_sgpr_workgroup_info 0
		.amdhsa_system_vgpr_workitem_id 0
		.amdhsa_next_free_vgpr 3
		.amdhsa_next_free_sgpr 5
		.amdhsa_named_barrier_count 0
		.amdhsa_reserve_vcc 0
		.amdhsa_float_round_mode_32 0
		.amdhsa_float_round_mode_16_64 0
		.amdhsa_float_denorm_mode_32 3
		.amdhsa_float_denorm_mode_16_64 3
		.amdhsa_fp16_overflow 0
		.amdhsa_memory_ordered 1
		.amdhsa_forward_progress 1
		.amdhsa_inst_pref_size 1
		.amdhsa_round_robin_scheduling 0
		.amdhsa_exception_fp_ieee_invalid_op 0
		.amdhsa_exception_fp_denorm_src 0
		.amdhsa_exception_fp_ieee_div_zero 0
		.amdhsa_exception_fp_ieee_overflow 0
		.amdhsa_exception_fp_ieee_underflow 0
		.amdhsa_exception_fp_ieee_inexact 0
		.amdhsa_exception_int_div_zero 0
	.end_amdhsa_kernel
	.section	.text._Z18vector_test_kernelI15HIP_vector_typeIsLj3EELj3ELj16EEvPT_S3_,"axG",@progbits,_Z18vector_test_kernelI15HIP_vector_typeIsLj3EELj3ELj16EEvPT_S3_,comdat
.Lfunc_end34:
	.size	_Z18vector_test_kernelI15HIP_vector_typeIsLj3EELj3ELj16EEvPT_S3_, .Lfunc_end34-_Z18vector_test_kernelI15HIP_vector_typeIsLj3EELj3ELj16EEvPT_S3_
                                        ; -- End function
	.set _Z18vector_test_kernelI15HIP_vector_typeIsLj3EELj3ELj16EEvPT_S3_.num_vgpr, 3
	.set _Z18vector_test_kernelI15HIP_vector_typeIsLj3EELj3ELj16EEvPT_S3_.num_agpr, 0
	.set _Z18vector_test_kernelI15HIP_vector_typeIsLj3EELj3ELj16EEvPT_S3_.numbered_sgpr, 5
	.set _Z18vector_test_kernelI15HIP_vector_typeIsLj3EELj3ELj16EEvPT_S3_.num_named_barrier, 0
	.set _Z18vector_test_kernelI15HIP_vector_typeIsLj3EELj3ELj16EEvPT_S3_.private_seg_size, 0
	.set _Z18vector_test_kernelI15HIP_vector_typeIsLj3EELj3ELj16EEvPT_S3_.uses_vcc, 0
	.set _Z18vector_test_kernelI15HIP_vector_typeIsLj3EELj3ELj16EEvPT_S3_.uses_flat_scratch, 0
	.set _Z18vector_test_kernelI15HIP_vector_typeIsLj3EELj3ELj16EEvPT_S3_.has_dyn_sized_stack, 0
	.set _Z18vector_test_kernelI15HIP_vector_typeIsLj3EELj3ELj16EEvPT_S3_.has_recursion, 0
	.set _Z18vector_test_kernelI15HIP_vector_typeIsLj3EELj3ELj16EEvPT_S3_.has_indirect_call, 0
	.section	.AMDGPU.csdata,"",@progbits
; Kernel info:
; codeLenInByte = 104
; TotalNumSgprs: 5
; NumVgprs: 3
; ScratchSize: 0
; MemoryBound: 0
; FloatMode: 240
; IeeeMode: 1
; LDSByteSize: 0 bytes/workgroup (compile time only)
; SGPRBlocks: 0
; VGPRBlocks: 0
; NumSGPRsForWavesPerEU: 5
; NumVGPRsForWavesPerEU: 3
; NamedBarCnt: 0
; Occupancy: 16
; WaveLimiterHint : 0
; COMPUTE_PGM_RSRC2:SCRATCH_EN: 0
; COMPUTE_PGM_RSRC2:USER_SGPR: 2
; COMPUTE_PGM_RSRC2:TRAP_HANDLER: 0
; COMPUTE_PGM_RSRC2:TGID_X_EN: 1
; COMPUTE_PGM_RSRC2:TGID_Y_EN: 0
; COMPUTE_PGM_RSRC2:TGID_Z_EN: 0
; COMPUTE_PGM_RSRC2:TIDIG_COMP_CNT: 0
	.section	.text._Z18vector_test_kernelI15HIP_vector_typeIcLj3EELj3ELj16EEvPT_S3_,"axG",@progbits,_Z18vector_test_kernelI15HIP_vector_typeIcLj3EELj3ELj16EEvPT_S3_,comdat
	.protected	_Z18vector_test_kernelI15HIP_vector_typeIcLj3EELj3ELj16EEvPT_S3_ ; -- Begin function _Z18vector_test_kernelI15HIP_vector_typeIcLj3EELj3ELj16EEvPT_S3_
	.globl	_Z18vector_test_kernelI15HIP_vector_typeIcLj3EELj3ELj16EEvPT_S3_
	.p2align	8
	.type	_Z18vector_test_kernelI15HIP_vector_typeIcLj3EELj3ELj16EEvPT_S3_,@function
_Z18vector_test_kernelI15HIP_vector_typeIcLj3EELj3ELj16EEvPT_S3_: ; @_Z18vector_test_kernelI15HIP_vector_typeIcLj3EELj3ELj16EEvPT_S3_
; %bb.0:
	s_load_b64 s[0:1], s[0:1], 0x8
	s_bfe_u32 s2, ttmp6, 0x4000c
	s_and_b32 s3, ttmp6, 15
	s_add_co_i32 s2, s2, 1
	s_getreg_b32 s4, hwreg(HW_REG_IB_STS2, 6, 4)
	s_mul_i32 s2, ttmp9, s2
	v_mov_b32_e32 v2, 0
	s_add_co_i32 s3, s3, s2
	s_cmp_eq_u32 s4, 0
	s_cselect_b32 s2, ttmp9, s3
	s_delay_alu instid0(SALU_CYCLE_1) | instskip(SKIP_1) | instid1(VALU_DEP_1)
	v_lshl_add_u32 v0, s2, 4, v0
	s_wait_kmcnt 0x0
	v_mad_nc_u64_u32 v[0:1], v0, 3, s[0:1]
	s_clause 0x1
	global_store_b8 v[0:1], v2, off offset:2
	global_store_b16 v[0:1], v2, off
	s_endpgm
	.section	.rodata,"a",@progbits
	.p2align	6, 0x0
	.amdhsa_kernel _Z18vector_test_kernelI15HIP_vector_typeIcLj3EELj3ELj16EEvPT_S3_
		.amdhsa_group_segment_fixed_size 0
		.amdhsa_private_segment_fixed_size 0
		.amdhsa_kernarg_size 16
		.amdhsa_user_sgpr_count 2
		.amdhsa_user_sgpr_dispatch_ptr 0
		.amdhsa_user_sgpr_queue_ptr 0
		.amdhsa_user_sgpr_kernarg_segment_ptr 1
		.amdhsa_user_sgpr_dispatch_id 0
		.amdhsa_user_sgpr_kernarg_preload_length 0
		.amdhsa_user_sgpr_kernarg_preload_offset 0
		.amdhsa_user_sgpr_private_segment_size 0
		.amdhsa_wavefront_size32 1
		.amdhsa_uses_dynamic_stack 0
		.amdhsa_enable_private_segment 0
		.amdhsa_system_sgpr_workgroup_id_x 1
		.amdhsa_system_sgpr_workgroup_id_y 0
		.amdhsa_system_sgpr_workgroup_id_z 0
		.amdhsa_system_sgpr_workgroup_info 0
		.amdhsa_system_vgpr_workitem_id 0
		.amdhsa_next_free_vgpr 3
		.amdhsa_next_free_sgpr 5
		.amdhsa_named_barrier_count 0
		.amdhsa_reserve_vcc 0
		.amdhsa_float_round_mode_32 0
		.amdhsa_float_round_mode_16_64 0
		.amdhsa_float_denorm_mode_32 3
		.amdhsa_float_denorm_mode_16_64 3
		.amdhsa_fp16_overflow 0
		.amdhsa_memory_ordered 1
		.amdhsa_forward_progress 1
		.amdhsa_inst_pref_size 1
		.amdhsa_round_robin_scheduling 0
		.amdhsa_exception_fp_ieee_invalid_op 0
		.amdhsa_exception_fp_denorm_src 0
		.amdhsa_exception_fp_ieee_div_zero 0
		.amdhsa_exception_fp_ieee_overflow 0
		.amdhsa_exception_fp_ieee_underflow 0
		.amdhsa_exception_fp_ieee_inexact 0
		.amdhsa_exception_int_div_zero 0
	.end_amdhsa_kernel
	.section	.text._Z18vector_test_kernelI15HIP_vector_typeIcLj3EELj3ELj16EEvPT_S3_,"axG",@progbits,_Z18vector_test_kernelI15HIP_vector_typeIcLj3EELj3ELj16EEvPT_S3_,comdat
.Lfunc_end35:
	.size	_Z18vector_test_kernelI15HIP_vector_typeIcLj3EELj3ELj16EEvPT_S3_, .Lfunc_end35-_Z18vector_test_kernelI15HIP_vector_typeIcLj3EELj3ELj16EEvPT_S3_
                                        ; -- End function
	.set _Z18vector_test_kernelI15HIP_vector_typeIcLj3EELj3ELj16EEvPT_S3_.num_vgpr, 3
	.set _Z18vector_test_kernelI15HIP_vector_typeIcLj3EELj3ELj16EEvPT_S3_.num_agpr, 0
	.set _Z18vector_test_kernelI15HIP_vector_typeIcLj3EELj3ELj16EEvPT_S3_.numbered_sgpr, 5
	.set _Z18vector_test_kernelI15HIP_vector_typeIcLj3EELj3ELj16EEvPT_S3_.num_named_barrier, 0
	.set _Z18vector_test_kernelI15HIP_vector_typeIcLj3EELj3ELj16EEvPT_S3_.private_seg_size, 0
	.set _Z18vector_test_kernelI15HIP_vector_typeIcLj3EELj3ELj16EEvPT_S3_.uses_vcc, 0
	.set _Z18vector_test_kernelI15HIP_vector_typeIcLj3EELj3ELj16EEvPT_S3_.uses_flat_scratch, 0
	.set _Z18vector_test_kernelI15HIP_vector_typeIcLj3EELj3ELj16EEvPT_S3_.has_dyn_sized_stack, 0
	.set _Z18vector_test_kernelI15HIP_vector_typeIcLj3EELj3ELj16EEvPT_S3_.has_recursion, 0
	.set _Z18vector_test_kernelI15HIP_vector_typeIcLj3EELj3ELj16EEvPT_S3_.has_indirect_call, 0
	.section	.AMDGPU.csdata,"",@progbits
; Kernel info:
; codeLenInByte = 104
; TotalNumSgprs: 5
; NumVgprs: 3
; ScratchSize: 0
; MemoryBound: 0
; FloatMode: 240
; IeeeMode: 1
; LDSByteSize: 0 bytes/workgroup (compile time only)
; SGPRBlocks: 0
; VGPRBlocks: 0
; NumSGPRsForWavesPerEU: 5
; NumVGPRsForWavesPerEU: 3
; NamedBarCnt: 0
; Occupancy: 16
; WaveLimiterHint : 0
; COMPUTE_PGM_RSRC2:SCRATCH_EN: 0
; COMPUTE_PGM_RSRC2:USER_SGPR: 2
; COMPUTE_PGM_RSRC2:TRAP_HANDLER: 0
; COMPUTE_PGM_RSRC2:TGID_X_EN: 1
; COMPUTE_PGM_RSRC2:TGID_Y_EN: 0
; COMPUTE_PGM_RSRC2:TGID_Z_EN: 0
; COMPUTE_PGM_RSRC2:TIDIG_COMP_CNT: 0
	.section	.text._Z18vector_test_kernelI15HIP_vector_typeIhLj4EELj4ELj16EEvPT_S3_,"axG",@progbits,_Z18vector_test_kernelI15HIP_vector_typeIhLj4EELj4ELj16EEvPT_S3_,comdat
	.protected	_Z18vector_test_kernelI15HIP_vector_typeIhLj4EELj4ELj16EEvPT_S3_ ; -- Begin function _Z18vector_test_kernelI15HIP_vector_typeIhLj4EELj4ELj16EEvPT_S3_
	.globl	_Z18vector_test_kernelI15HIP_vector_typeIhLj4EELj4ELj16EEvPT_S3_
	.p2align	8
	.type	_Z18vector_test_kernelI15HIP_vector_typeIhLj4EELj4ELj16EEvPT_S3_,@function
_Z18vector_test_kernelI15HIP_vector_typeIhLj4EELj4ELj16EEvPT_S3_: ; @_Z18vector_test_kernelI15HIP_vector_typeIhLj4EELj4ELj16EEvPT_S3_
; %bb.0:
	s_load_b64 s[0:1], s[0:1], 0x8
	s_bfe_u32 s2, ttmp6, 0x4000c
	s_and_b32 s3, ttmp6, 15
	s_add_co_i32 s2, s2, 1
	s_getreg_b32 s4, hwreg(HW_REG_IB_STS2, 6, 4)
	s_mul_i32 s2, ttmp9, s2
	v_mov_b32_e32 v1, 0
	s_add_co_i32 s3, s3, s2
	s_cmp_eq_u32 s4, 0
	s_cselect_b32 s2, ttmp9, s3
	s_delay_alu instid0(SALU_CYCLE_1)
	v_lshl_add_u32 v0, s2, 4, v0
	s_wait_kmcnt 0x0
	global_store_b32 v0, v1, s[0:1] scale_offset
	s_endpgm
	.section	.rodata,"a",@progbits
	.p2align	6, 0x0
	.amdhsa_kernel _Z18vector_test_kernelI15HIP_vector_typeIhLj4EELj4ELj16EEvPT_S3_
		.amdhsa_group_segment_fixed_size 0
		.amdhsa_private_segment_fixed_size 0
		.amdhsa_kernarg_size 16
		.amdhsa_user_sgpr_count 2
		.amdhsa_user_sgpr_dispatch_ptr 0
		.amdhsa_user_sgpr_queue_ptr 0
		.amdhsa_user_sgpr_kernarg_segment_ptr 1
		.amdhsa_user_sgpr_dispatch_id 0
		.amdhsa_user_sgpr_kernarg_preload_length 0
		.amdhsa_user_sgpr_kernarg_preload_offset 0
		.amdhsa_user_sgpr_private_segment_size 0
		.amdhsa_wavefront_size32 1
		.amdhsa_uses_dynamic_stack 0
		.amdhsa_enable_private_segment 0
		.amdhsa_system_sgpr_workgroup_id_x 1
		.amdhsa_system_sgpr_workgroup_id_y 0
		.amdhsa_system_sgpr_workgroup_id_z 0
		.amdhsa_system_sgpr_workgroup_info 0
		.amdhsa_system_vgpr_workitem_id 0
		.amdhsa_next_free_vgpr 2
		.amdhsa_next_free_sgpr 5
		.amdhsa_named_barrier_count 0
		.amdhsa_reserve_vcc 0
		.amdhsa_float_round_mode_32 0
		.amdhsa_float_round_mode_16_64 0
		.amdhsa_float_denorm_mode_32 3
		.amdhsa_float_denorm_mode_16_64 3
		.amdhsa_fp16_overflow 0
		.amdhsa_memory_ordered 1
		.amdhsa_forward_progress 1
		.amdhsa_inst_pref_size 1
		.amdhsa_round_robin_scheduling 0
		.amdhsa_exception_fp_ieee_invalid_op 0
		.amdhsa_exception_fp_denorm_src 0
		.amdhsa_exception_fp_ieee_div_zero 0
		.amdhsa_exception_fp_ieee_overflow 0
		.amdhsa_exception_fp_ieee_underflow 0
		.amdhsa_exception_fp_ieee_inexact 0
		.amdhsa_exception_int_div_zero 0
	.end_amdhsa_kernel
	.section	.text._Z18vector_test_kernelI15HIP_vector_typeIhLj4EELj4ELj16EEvPT_S3_,"axG",@progbits,_Z18vector_test_kernelI15HIP_vector_typeIhLj4EELj4ELj16EEvPT_S3_,comdat
.Lfunc_end36:
	.size	_Z18vector_test_kernelI15HIP_vector_typeIhLj4EELj4ELj16EEvPT_S3_, .Lfunc_end36-_Z18vector_test_kernelI15HIP_vector_typeIhLj4EELj4ELj16EEvPT_S3_
                                        ; -- End function
	.set _Z18vector_test_kernelI15HIP_vector_typeIhLj4EELj4ELj16EEvPT_S3_.num_vgpr, 2
	.set _Z18vector_test_kernelI15HIP_vector_typeIhLj4EELj4ELj16EEvPT_S3_.num_agpr, 0
	.set _Z18vector_test_kernelI15HIP_vector_typeIhLj4EELj4ELj16EEvPT_S3_.numbered_sgpr, 5
	.set _Z18vector_test_kernelI15HIP_vector_typeIhLj4EELj4ELj16EEvPT_S3_.num_named_barrier, 0
	.set _Z18vector_test_kernelI15HIP_vector_typeIhLj4EELj4ELj16EEvPT_S3_.private_seg_size, 0
	.set _Z18vector_test_kernelI15HIP_vector_typeIhLj4EELj4ELj16EEvPT_S3_.uses_vcc, 0
	.set _Z18vector_test_kernelI15HIP_vector_typeIhLj4EELj4ELj16EEvPT_S3_.uses_flat_scratch, 0
	.set _Z18vector_test_kernelI15HIP_vector_typeIhLj4EELj4ELj16EEvPT_S3_.has_dyn_sized_stack, 0
	.set _Z18vector_test_kernelI15HIP_vector_typeIhLj4EELj4ELj16EEvPT_S3_.has_recursion, 0
	.set _Z18vector_test_kernelI15HIP_vector_typeIhLj4EELj4ELj16EEvPT_S3_.has_indirect_call, 0
	.section	.AMDGPU.csdata,"",@progbits
; Kernel info:
; codeLenInByte = 80
; TotalNumSgprs: 5
; NumVgprs: 2
; ScratchSize: 0
; MemoryBound: 0
; FloatMode: 240
; IeeeMode: 1
; LDSByteSize: 0 bytes/workgroup (compile time only)
; SGPRBlocks: 0
; VGPRBlocks: 0
; NumSGPRsForWavesPerEU: 5
; NumVGPRsForWavesPerEU: 2
; NamedBarCnt: 0
; Occupancy: 16
; WaveLimiterHint : 0
; COMPUTE_PGM_RSRC2:SCRATCH_EN: 0
; COMPUTE_PGM_RSRC2:USER_SGPR: 2
; COMPUTE_PGM_RSRC2:TRAP_HANDLER: 0
; COMPUTE_PGM_RSRC2:TGID_X_EN: 1
; COMPUTE_PGM_RSRC2:TGID_Y_EN: 0
; COMPUTE_PGM_RSRC2:TGID_Z_EN: 0
; COMPUTE_PGM_RSRC2:TIDIG_COMP_CNT: 0
	.section	.text._Z18vector_test_kernelI15HIP_vector_typeIdLj4EELj4ELj16EEvPT_S3_,"axG",@progbits,_Z18vector_test_kernelI15HIP_vector_typeIdLj4EELj4ELj16EEvPT_S3_,comdat
	.protected	_Z18vector_test_kernelI15HIP_vector_typeIdLj4EELj4ELj16EEvPT_S3_ ; -- Begin function _Z18vector_test_kernelI15HIP_vector_typeIdLj4EELj4ELj16EEvPT_S3_
	.globl	_Z18vector_test_kernelI15HIP_vector_typeIdLj4EELj4ELj16EEvPT_S3_
	.p2align	8
	.type	_Z18vector_test_kernelI15HIP_vector_typeIdLj4EELj4ELj16EEvPT_S3_,@function
_Z18vector_test_kernelI15HIP_vector_typeIdLj4EELj4ELj16EEvPT_S3_: ; @_Z18vector_test_kernelI15HIP_vector_typeIdLj4EELj4ELj16EEvPT_S3_
; %bb.0:
	s_bfe_u32 s4, ttmp6, 0x4000c
	s_load_b128 s[0:3], s[0:1], 0x0
	s_add_co_i32 s4, s4, 1
	s_and_b32 s5, ttmp6, 15
	s_mul_i32 s4, ttmp9, s4
	s_getreg_b32 s6, hwreg(HW_REG_IB_STS2, 6, 4)
	s_add_co_i32 s5, s5, s4
	s_cmp_eq_u32 s6, 0
	v_mov_b32_e32 v1, 0
	s_cselect_b32 s4, ttmp9, s5
	s_delay_alu instid0(SALU_CYCLE_1) | instskip(NEXT) | instid1(VALU_DEP_1)
	v_lshl_add_u32 v0, s4, 4, v0
	v_lshlrev_b64_e32 v[8:9], 5, v[0:1]
	s_wait_kmcnt 0x0
	s_delay_alu instid0(VALU_DEP_1)
	v_add_nc_u64_e32 v[10:11], s[0:1], v[8:9]
	v_add_nc_u64_e32 v[8:9], s[2:3], v[8:9]
	s_clause 0x1
	global_load_b128 v[0:3], v[10:11], off offset:16
	global_load_b128 v[4:7], v[10:11], off
	s_wait_loadcnt 0x1
	v_add_f64_e64 v[2:3], v[2:3], -v[2:3]
	s_wait_loadcnt 0x0
	v_add_f64_e64 v[6:7], v[6:7], -v[6:7]
	v_add_f64_e64 v[4:5], v[4:5], -v[4:5]
	;; [unrolled: 1-line block ×3, first 2 shown]
	s_clause 0x1
	global_store_b128 v[8:9], v[4:7], off
	global_store_b128 v[8:9], v[0:3], off offset:16
	s_endpgm
	.section	.rodata,"a",@progbits
	.p2align	6, 0x0
	.amdhsa_kernel _Z18vector_test_kernelI15HIP_vector_typeIdLj4EELj4ELj16EEvPT_S3_
		.amdhsa_group_segment_fixed_size 0
		.amdhsa_private_segment_fixed_size 0
		.amdhsa_kernarg_size 16
		.amdhsa_user_sgpr_count 2
		.amdhsa_user_sgpr_dispatch_ptr 0
		.amdhsa_user_sgpr_queue_ptr 0
		.amdhsa_user_sgpr_kernarg_segment_ptr 1
		.amdhsa_user_sgpr_dispatch_id 0
		.amdhsa_user_sgpr_kernarg_preload_length 0
		.amdhsa_user_sgpr_kernarg_preload_offset 0
		.amdhsa_user_sgpr_private_segment_size 0
		.amdhsa_wavefront_size32 1
		.amdhsa_uses_dynamic_stack 0
		.amdhsa_enable_private_segment 0
		.amdhsa_system_sgpr_workgroup_id_x 1
		.amdhsa_system_sgpr_workgroup_id_y 0
		.amdhsa_system_sgpr_workgroup_id_z 0
		.amdhsa_system_sgpr_workgroup_info 0
		.amdhsa_system_vgpr_workitem_id 0
		.amdhsa_next_free_vgpr 12
		.amdhsa_next_free_sgpr 7
		.amdhsa_named_barrier_count 0
		.amdhsa_reserve_vcc 0
		.amdhsa_float_round_mode_32 0
		.amdhsa_float_round_mode_16_64 0
		.amdhsa_float_denorm_mode_32 3
		.amdhsa_float_denorm_mode_16_64 3
		.amdhsa_fp16_overflow 0
		.amdhsa_memory_ordered 1
		.amdhsa_forward_progress 1
		.amdhsa_inst_pref_size 2
		.amdhsa_round_robin_scheduling 0
		.amdhsa_exception_fp_ieee_invalid_op 0
		.amdhsa_exception_fp_denorm_src 0
		.amdhsa_exception_fp_ieee_div_zero 0
		.amdhsa_exception_fp_ieee_overflow 0
		.amdhsa_exception_fp_ieee_underflow 0
		.amdhsa_exception_fp_ieee_inexact 0
		.amdhsa_exception_int_div_zero 0
	.end_amdhsa_kernel
	.section	.text._Z18vector_test_kernelI15HIP_vector_typeIdLj4EELj4ELj16EEvPT_S3_,"axG",@progbits,_Z18vector_test_kernelI15HIP_vector_typeIdLj4EELj4ELj16EEvPT_S3_,comdat
.Lfunc_end37:
	.size	_Z18vector_test_kernelI15HIP_vector_typeIdLj4EELj4ELj16EEvPT_S3_, .Lfunc_end37-_Z18vector_test_kernelI15HIP_vector_typeIdLj4EELj4ELj16EEvPT_S3_
                                        ; -- End function
	.set _Z18vector_test_kernelI15HIP_vector_typeIdLj4EELj4ELj16EEvPT_S3_.num_vgpr, 12
	.set _Z18vector_test_kernelI15HIP_vector_typeIdLj4EELj4ELj16EEvPT_S3_.num_agpr, 0
	.set _Z18vector_test_kernelI15HIP_vector_typeIdLj4EELj4ELj16EEvPT_S3_.numbered_sgpr, 7
	.set _Z18vector_test_kernelI15HIP_vector_typeIdLj4EELj4ELj16EEvPT_S3_.num_named_barrier, 0
	.set _Z18vector_test_kernelI15HIP_vector_typeIdLj4EELj4ELj16EEvPT_S3_.private_seg_size, 0
	.set _Z18vector_test_kernelI15HIP_vector_typeIdLj4EELj4ELj16EEvPT_S3_.uses_vcc, 0
	.set _Z18vector_test_kernelI15HIP_vector_typeIdLj4EELj4ELj16EEvPT_S3_.uses_flat_scratch, 0
	.set _Z18vector_test_kernelI15HIP_vector_typeIdLj4EELj4ELj16EEvPT_S3_.has_dyn_sized_stack, 0
	.set _Z18vector_test_kernelI15HIP_vector_typeIdLj4EELj4ELj16EEvPT_S3_.has_recursion, 0
	.set _Z18vector_test_kernelI15HIP_vector_typeIdLj4EELj4ELj16EEvPT_S3_.has_indirect_call, 0
	.section	.AMDGPU.csdata,"",@progbits
; Kernel info:
; codeLenInByte = 180
; TotalNumSgprs: 7
; NumVgprs: 12
; ScratchSize: 0
; MemoryBound: 0
; FloatMode: 240
; IeeeMode: 1
; LDSByteSize: 0 bytes/workgroup (compile time only)
; SGPRBlocks: 0
; VGPRBlocks: 0
; NumSGPRsForWavesPerEU: 7
; NumVGPRsForWavesPerEU: 12
; NamedBarCnt: 0
; Occupancy: 16
; WaveLimiterHint : 0
; COMPUTE_PGM_RSRC2:SCRATCH_EN: 0
; COMPUTE_PGM_RSRC2:USER_SGPR: 2
; COMPUTE_PGM_RSRC2:TRAP_HANDLER: 0
; COMPUTE_PGM_RSRC2:TGID_X_EN: 1
; COMPUTE_PGM_RSRC2:TGID_Y_EN: 0
; COMPUTE_PGM_RSRC2:TGID_Z_EN: 0
; COMPUTE_PGM_RSRC2:TIDIG_COMP_CNT: 0
	.section	.text._Z18vector_test_kernelI15HIP_vector_typeIfLj4EELj4ELj16EEvPT_S3_,"axG",@progbits,_Z18vector_test_kernelI15HIP_vector_typeIfLj4EELj4ELj16EEvPT_S3_,comdat
	.protected	_Z18vector_test_kernelI15HIP_vector_typeIfLj4EELj4ELj16EEvPT_S3_ ; -- Begin function _Z18vector_test_kernelI15HIP_vector_typeIfLj4EELj4ELj16EEvPT_S3_
	.globl	_Z18vector_test_kernelI15HIP_vector_typeIfLj4EELj4ELj16EEvPT_S3_
	.p2align	8
	.type	_Z18vector_test_kernelI15HIP_vector_typeIfLj4EELj4ELj16EEvPT_S3_,@function
_Z18vector_test_kernelI15HIP_vector_typeIfLj4EELj4ELj16EEvPT_S3_: ; @_Z18vector_test_kernelI15HIP_vector_typeIfLj4EELj4ELj16EEvPT_S3_
; %bb.0:
	s_load_b128 s[0:3], s[0:1], 0x0
	s_bfe_u32 s4, ttmp6, 0x4000c
	s_and_b32 s5, ttmp6, 15
	s_add_co_i32 s4, s4, 1
	s_getreg_b32 s6, hwreg(HW_REG_IB_STS2, 6, 4)
	s_mul_i32 s4, ttmp9, s4
	s_delay_alu instid0(SALU_CYCLE_1) | instskip(SKIP_2) | instid1(SALU_CYCLE_1)
	s_add_co_i32 s5, s5, s4
	s_cmp_eq_u32 s6, 0
	s_cselect_b32 s4, ttmp9, s5
	v_lshl_add_u32 v4, s4, 4, v0
	s_wait_kmcnt 0x0
	global_load_b128 v[0:3], v4, s[0:1] scale_offset
	s_wait_loadcnt 0x0
	v_dual_sub_f32 v3, v3, v3 :: v_dual_sub_f32 v2, v2, v2
	v_dual_sub_f32 v1, v1, v1 :: v_dual_sub_f32 v0, v0, v0
	global_store_b128 v4, v[0:3], s[2:3] scale_offset
	s_endpgm
	.section	.rodata,"a",@progbits
	.p2align	6, 0x0
	.amdhsa_kernel _Z18vector_test_kernelI15HIP_vector_typeIfLj4EELj4ELj16EEvPT_S3_
		.amdhsa_group_segment_fixed_size 0
		.amdhsa_private_segment_fixed_size 0
		.amdhsa_kernarg_size 16
		.amdhsa_user_sgpr_count 2
		.amdhsa_user_sgpr_dispatch_ptr 0
		.amdhsa_user_sgpr_queue_ptr 0
		.amdhsa_user_sgpr_kernarg_segment_ptr 1
		.amdhsa_user_sgpr_dispatch_id 0
		.amdhsa_user_sgpr_kernarg_preload_length 0
		.amdhsa_user_sgpr_kernarg_preload_offset 0
		.amdhsa_user_sgpr_private_segment_size 0
		.amdhsa_wavefront_size32 1
		.amdhsa_uses_dynamic_stack 0
		.amdhsa_enable_private_segment 0
		.amdhsa_system_sgpr_workgroup_id_x 1
		.amdhsa_system_sgpr_workgroup_id_y 0
		.amdhsa_system_sgpr_workgroup_id_z 0
		.amdhsa_system_sgpr_workgroup_info 0
		.amdhsa_system_vgpr_workitem_id 0
		.amdhsa_next_free_vgpr 5
		.amdhsa_next_free_sgpr 7
		.amdhsa_named_barrier_count 0
		.amdhsa_reserve_vcc 0
		.amdhsa_float_round_mode_32 0
		.amdhsa_float_round_mode_16_64 0
		.amdhsa_float_denorm_mode_32 3
		.amdhsa_float_denorm_mode_16_64 3
		.amdhsa_fp16_overflow 0
		.amdhsa_memory_ordered 1
		.amdhsa_forward_progress 1
		.amdhsa_inst_pref_size 1
		.amdhsa_round_robin_scheduling 0
		.amdhsa_exception_fp_ieee_invalid_op 0
		.amdhsa_exception_fp_denorm_src 0
		.amdhsa_exception_fp_ieee_div_zero 0
		.amdhsa_exception_fp_ieee_overflow 0
		.amdhsa_exception_fp_ieee_underflow 0
		.amdhsa_exception_fp_ieee_inexact 0
		.amdhsa_exception_int_div_zero 0
	.end_amdhsa_kernel
	.section	.text._Z18vector_test_kernelI15HIP_vector_typeIfLj4EELj4ELj16EEvPT_S3_,"axG",@progbits,_Z18vector_test_kernelI15HIP_vector_typeIfLj4EELj4ELj16EEvPT_S3_,comdat
.Lfunc_end38:
	.size	_Z18vector_test_kernelI15HIP_vector_typeIfLj4EELj4ELj16EEvPT_S3_, .Lfunc_end38-_Z18vector_test_kernelI15HIP_vector_typeIfLj4EELj4ELj16EEvPT_S3_
                                        ; -- End function
	.set _Z18vector_test_kernelI15HIP_vector_typeIfLj4EELj4ELj16EEvPT_S3_.num_vgpr, 5
	.set _Z18vector_test_kernelI15HIP_vector_typeIfLj4EELj4ELj16EEvPT_S3_.num_agpr, 0
	.set _Z18vector_test_kernelI15HIP_vector_typeIfLj4EELj4ELj16EEvPT_S3_.numbered_sgpr, 7
	.set _Z18vector_test_kernelI15HIP_vector_typeIfLj4EELj4ELj16EEvPT_S3_.num_named_barrier, 0
	.set _Z18vector_test_kernelI15HIP_vector_typeIfLj4EELj4ELj16EEvPT_S3_.private_seg_size, 0
	.set _Z18vector_test_kernelI15HIP_vector_typeIfLj4EELj4ELj16EEvPT_S3_.uses_vcc, 0
	.set _Z18vector_test_kernelI15HIP_vector_typeIfLj4EELj4ELj16EEvPT_S3_.uses_flat_scratch, 0
	.set _Z18vector_test_kernelI15HIP_vector_typeIfLj4EELj4ELj16EEvPT_S3_.has_dyn_sized_stack, 0
	.set _Z18vector_test_kernelI15HIP_vector_typeIfLj4EELj4ELj16EEvPT_S3_.has_recursion, 0
	.set _Z18vector_test_kernelI15HIP_vector_typeIfLj4EELj4ELj16EEvPT_S3_.has_indirect_call, 0
	.section	.AMDGPU.csdata,"",@progbits
; Kernel info:
; codeLenInByte = 108
; TotalNumSgprs: 7
; NumVgprs: 5
; ScratchSize: 0
; MemoryBound: 0
; FloatMode: 240
; IeeeMode: 1
; LDSByteSize: 0 bytes/workgroup (compile time only)
; SGPRBlocks: 0
; VGPRBlocks: 0
; NumSGPRsForWavesPerEU: 7
; NumVGPRsForWavesPerEU: 5
; NamedBarCnt: 0
; Occupancy: 16
; WaveLimiterHint : 0
; COMPUTE_PGM_RSRC2:SCRATCH_EN: 0
; COMPUTE_PGM_RSRC2:USER_SGPR: 2
; COMPUTE_PGM_RSRC2:TRAP_HANDLER: 0
; COMPUTE_PGM_RSRC2:TGID_X_EN: 1
; COMPUTE_PGM_RSRC2:TGID_Y_EN: 0
; COMPUTE_PGM_RSRC2:TGID_Z_EN: 0
; COMPUTE_PGM_RSRC2:TIDIG_COMP_CNT: 0
	.section	.text._Z18vector_test_kernelI15HIP_vector_typeIyLj4EELj4ELj16EEvPT_S3_,"axG",@progbits,_Z18vector_test_kernelI15HIP_vector_typeIyLj4EELj4ELj16EEvPT_S3_,comdat
	.protected	_Z18vector_test_kernelI15HIP_vector_typeIyLj4EELj4ELj16EEvPT_S3_ ; -- Begin function _Z18vector_test_kernelI15HIP_vector_typeIyLj4EELj4ELj16EEvPT_S3_
	.globl	_Z18vector_test_kernelI15HIP_vector_typeIyLj4EELj4ELj16EEvPT_S3_
	.p2align	8
	.type	_Z18vector_test_kernelI15HIP_vector_typeIyLj4EELj4ELj16EEvPT_S3_,@function
_Z18vector_test_kernelI15HIP_vector_typeIyLj4EELj4ELj16EEvPT_S3_: ; @_Z18vector_test_kernelI15HIP_vector_typeIyLj4EELj4ELj16EEvPT_S3_
; %bb.0:
	s_bfe_u32 s2, ttmp6, 0x4000c
	s_load_b64 s[4:5], s[0:1], 0x8
	s_add_co_i32 s2, s2, 1
	s_wait_xcnt 0x0
	s_and_b32 s0, ttmp6, 15
	s_mul_i32 s1, ttmp9, s2
	s_getreg_b32 s2, hwreg(HW_REG_IB_STS2, 6, 4)
	s_add_co_i32 s0, s0, s1
	s_cmp_eq_u32 s2, 0
	v_mov_b32_e32 v1, 0
	s_cselect_b32 s0, ttmp9, s0
	s_delay_alu instid0(SALU_CYCLE_1) | instskip(SKIP_1) | instid1(SALU_CYCLE_1)
	v_lshl_add_u32 v0, s0, 4, v0
	s_mov_b32 s0, 0
	s_mov_b32 s1, s0
	;; [unrolled: 1-line block ×3, first 2 shown]
	s_delay_alu instid0(VALU_DEP_1) | instskip(SKIP_2) | instid1(VALU_DEP_1)
	v_lshlrev_b64_e32 v[0:1], 5, v[0:1]
	s_mov_b32 s3, s0
	s_wait_kmcnt 0x0
	v_add_nc_u64_e32 v[4:5], s[4:5], v[0:1]
	v_mov_b64_e32 v[0:1], s[0:1]
	v_mov_b64_e32 v[2:3], s[2:3]
	s_clause 0x1
	global_store_b128 v[4:5], v[0:3], off
	global_store_b128 v[4:5], v[0:3], off offset:16
	s_endpgm
	.section	.rodata,"a",@progbits
	.p2align	6, 0x0
	.amdhsa_kernel _Z18vector_test_kernelI15HIP_vector_typeIyLj4EELj4ELj16EEvPT_S3_
		.amdhsa_group_segment_fixed_size 0
		.amdhsa_private_segment_fixed_size 0
		.amdhsa_kernarg_size 16
		.amdhsa_user_sgpr_count 2
		.amdhsa_user_sgpr_dispatch_ptr 0
		.amdhsa_user_sgpr_queue_ptr 0
		.amdhsa_user_sgpr_kernarg_segment_ptr 1
		.amdhsa_user_sgpr_dispatch_id 0
		.amdhsa_user_sgpr_kernarg_preload_length 0
		.amdhsa_user_sgpr_kernarg_preload_offset 0
		.amdhsa_user_sgpr_private_segment_size 0
		.amdhsa_wavefront_size32 1
		.amdhsa_uses_dynamic_stack 0
		.amdhsa_enable_private_segment 0
		.amdhsa_system_sgpr_workgroup_id_x 1
		.amdhsa_system_sgpr_workgroup_id_y 0
		.amdhsa_system_sgpr_workgroup_id_z 0
		.amdhsa_system_sgpr_workgroup_info 0
		.amdhsa_system_vgpr_workitem_id 0
		.amdhsa_next_free_vgpr 6
		.amdhsa_next_free_sgpr 6
		.amdhsa_named_barrier_count 0
		.amdhsa_reserve_vcc 0
		.amdhsa_float_round_mode_32 0
		.amdhsa_float_round_mode_16_64 0
		.amdhsa_float_denorm_mode_32 3
		.amdhsa_float_denorm_mode_16_64 3
		.amdhsa_fp16_overflow 0
		.amdhsa_memory_ordered 1
		.amdhsa_forward_progress 1
		.amdhsa_inst_pref_size 2
		.amdhsa_round_robin_scheduling 0
		.amdhsa_exception_fp_ieee_invalid_op 0
		.amdhsa_exception_fp_denorm_src 0
		.amdhsa_exception_fp_ieee_div_zero 0
		.amdhsa_exception_fp_ieee_overflow 0
		.amdhsa_exception_fp_ieee_underflow 0
		.amdhsa_exception_fp_ieee_inexact 0
		.amdhsa_exception_int_div_zero 0
	.end_amdhsa_kernel
	.section	.text._Z18vector_test_kernelI15HIP_vector_typeIyLj4EELj4ELj16EEvPT_S3_,"axG",@progbits,_Z18vector_test_kernelI15HIP_vector_typeIyLj4EELj4ELj16EEvPT_S3_,comdat
.Lfunc_end39:
	.size	_Z18vector_test_kernelI15HIP_vector_typeIyLj4EELj4ELj16EEvPT_S3_, .Lfunc_end39-_Z18vector_test_kernelI15HIP_vector_typeIyLj4EELj4ELj16EEvPT_S3_
                                        ; -- End function
	.set _Z18vector_test_kernelI15HIP_vector_typeIyLj4EELj4ELj16EEvPT_S3_.num_vgpr, 6
	.set _Z18vector_test_kernelI15HIP_vector_typeIyLj4EELj4ELj16EEvPT_S3_.num_agpr, 0
	.set _Z18vector_test_kernelI15HIP_vector_typeIyLj4EELj4ELj16EEvPT_S3_.numbered_sgpr, 6
	.set _Z18vector_test_kernelI15HIP_vector_typeIyLj4EELj4ELj16EEvPT_S3_.num_named_barrier, 0
	.set _Z18vector_test_kernelI15HIP_vector_typeIyLj4EELj4ELj16EEvPT_S3_.private_seg_size, 0
	.set _Z18vector_test_kernelI15HIP_vector_typeIyLj4EELj4ELj16EEvPT_S3_.uses_vcc, 0
	.set _Z18vector_test_kernelI15HIP_vector_typeIyLj4EELj4ELj16EEvPT_S3_.uses_flat_scratch, 0
	.set _Z18vector_test_kernelI15HIP_vector_typeIyLj4EELj4ELj16EEvPT_S3_.has_dyn_sized_stack, 0
	.set _Z18vector_test_kernelI15HIP_vector_typeIyLj4EELj4ELj16EEvPT_S3_.has_recursion, 0
	.set _Z18vector_test_kernelI15HIP_vector_typeIyLj4EELj4ELj16EEvPT_S3_.has_indirect_call, 0
	.section	.AMDGPU.csdata,"",@progbits
; Kernel info:
; codeLenInByte = 136
; TotalNumSgprs: 6
; NumVgprs: 6
; ScratchSize: 0
; MemoryBound: 1
; FloatMode: 240
; IeeeMode: 1
; LDSByteSize: 0 bytes/workgroup (compile time only)
; SGPRBlocks: 0
; VGPRBlocks: 0
; NumSGPRsForWavesPerEU: 6
; NumVGPRsForWavesPerEU: 6
; NamedBarCnt: 0
; Occupancy: 16
; WaveLimiterHint : 1
; COMPUTE_PGM_RSRC2:SCRATCH_EN: 0
; COMPUTE_PGM_RSRC2:USER_SGPR: 2
; COMPUTE_PGM_RSRC2:TRAP_HANDLER: 0
; COMPUTE_PGM_RSRC2:TGID_X_EN: 1
; COMPUTE_PGM_RSRC2:TGID_Y_EN: 0
; COMPUTE_PGM_RSRC2:TGID_Z_EN: 0
; COMPUTE_PGM_RSRC2:TIDIG_COMP_CNT: 0
	.section	.text._Z18vector_test_kernelI15HIP_vector_typeIxLj4EELj4ELj16EEvPT_S3_,"axG",@progbits,_Z18vector_test_kernelI15HIP_vector_typeIxLj4EELj4ELj16EEvPT_S3_,comdat
	.protected	_Z18vector_test_kernelI15HIP_vector_typeIxLj4EELj4ELj16EEvPT_S3_ ; -- Begin function _Z18vector_test_kernelI15HIP_vector_typeIxLj4EELj4ELj16EEvPT_S3_
	.globl	_Z18vector_test_kernelI15HIP_vector_typeIxLj4EELj4ELj16EEvPT_S3_
	.p2align	8
	.type	_Z18vector_test_kernelI15HIP_vector_typeIxLj4EELj4ELj16EEvPT_S3_,@function
_Z18vector_test_kernelI15HIP_vector_typeIxLj4EELj4ELj16EEvPT_S3_: ; @_Z18vector_test_kernelI15HIP_vector_typeIxLj4EELj4ELj16EEvPT_S3_
; %bb.0:
	s_bfe_u32 s2, ttmp6, 0x4000c
	s_load_b64 s[4:5], s[0:1], 0x8
	s_add_co_i32 s2, s2, 1
	s_wait_xcnt 0x0
	s_and_b32 s0, ttmp6, 15
	s_mul_i32 s1, ttmp9, s2
	s_getreg_b32 s2, hwreg(HW_REG_IB_STS2, 6, 4)
	s_add_co_i32 s0, s0, s1
	s_cmp_eq_u32 s2, 0
	v_mov_b32_e32 v1, 0
	s_cselect_b32 s0, ttmp9, s0
	s_delay_alu instid0(SALU_CYCLE_1) | instskip(SKIP_1) | instid1(SALU_CYCLE_1)
	v_lshl_add_u32 v0, s0, 4, v0
	s_mov_b32 s0, 0
	s_mov_b32 s1, s0
	;; [unrolled: 1-line block ×3, first 2 shown]
	s_delay_alu instid0(VALU_DEP_1) | instskip(SKIP_2) | instid1(VALU_DEP_1)
	v_lshlrev_b64_e32 v[0:1], 5, v[0:1]
	s_mov_b32 s3, s0
	s_wait_kmcnt 0x0
	v_add_nc_u64_e32 v[4:5], s[4:5], v[0:1]
	v_mov_b64_e32 v[0:1], s[0:1]
	v_mov_b64_e32 v[2:3], s[2:3]
	s_clause 0x1
	global_store_b128 v[4:5], v[0:3], off
	global_store_b128 v[4:5], v[0:3], off offset:16
	s_endpgm
	.section	.rodata,"a",@progbits
	.p2align	6, 0x0
	.amdhsa_kernel _Z18vector_test_kernelI15HIP_vector_typeIxLj4EELj4ELj16EEvPT_S3_
		.amdhsa_group_segment_fixed_size 0
		.amdhsa_private_segment_fixed_size 0
		.amdhsa_kernarg_size 16
		.amdhsa_user_sgpr_count 2
		.amdhsa_user_sgpr_dispatch_ptr 0
		.amdhsa_user_sgpr_queue_ptr 0
		.amdhsa_user_sgpr_kernarg_segment_ptr 1
		.amdhsa_user_sgpr_dispatch_id 0
		.amdhsa_user_sgpr_kernarg_preload_length 0
		.amdhsa_user_sgpr_kernarg_preload_offset 0
		.amdhsa_user_sgpr_private_segment_size 0
		.amdhsa_wavefront_size32 1
		.amdhsa_uses_dynamic_stack 0
		.amdhsa_enable_private_segment 0
		.amdhsa_system_sgpr_workgroup_id_x 1
		.amdhsa_system_sgpr_workgroup_id_y 0
		.amdhsa_system_sgpr_workgroup_id_z 0
		.amdhsa_system_sgpr_workgroup_info 0
		.amdhsa_system_vgpr_workitem_id 0
		.amdhsa_next_free_vgpr 6
		.amdhsa_next_free_sgpr 6
		.amdhsa_named_barrier_count 0
		.amdhsa_reserve_vcc 0
		.amdhsa_float_round_mode_32 0
		.amdhsa_float_round_mode_16_64 0
		.amdhsa_float_denorm_mode_32 3
		.amdhsa_float_denorm_mode_16_64 3
		.amdhsa_fp16_overflow 0
		.amdhsa_memory_ordered 1
		.amdhsa_forward_progress 1
		.amdhsa_inst_pref_size 2
		.amdhsa_round_robin_scheduling 0
		.amdhsa_exception_fp_ieee_invalid_op 0
		.amdhsa_exception_fp_denorm_src 0
		.amdhsa_exception_fp_ieee_div_zero 0
		.amdhsa_exception_fp_ieee_overflow 0
		.amdhsa_exception_fp_ieee_underflow 0
		.amdhsa_exception_fp_ieee_inexact 0
		.amdhsa_exception_int_div_zero 0
	.end_amdhsa_kernel
	.section	.text._Z18vector_test_kernelI15HIP_vector_typeIxLj4EELj4ELj16EEvPT_S3_,"axG",@progbits,_Z18vector_test_kernelI15HIP_vector_typeIxLj4EELj4ELj16EEvPT_S3_,comdat
.Lfunc_end40:
	.size	_Z18vector_test_kernelI15HIP_vector_typeIxLj4EELj4ELj16EEvPT_S3_, .Lfunc_end40-_Z18vector_test_kernelI15HIP_vector_typeIxLj4EELj4ELj16EEvPT_S3_
                                        ; -- End function
	.set _Z18vector_test_kernelI15HIP_vector_typeIxLj4EELj4ELj16EEvPT_S3_.num_vgpr, 6
	.set _Z18vector_test_kernelI15HIP_vector_typeIxLj4EELj4ELj16EEvPT_S3_.num_agpr, 0
	.set _Z18vector_test_kernelI15HIP_vector_typeIxLj4EELj4ELj16EEvPT_S3_.numbered_sgpr, 6
	.set _Z18vector_test_kernelI15HIP_vector_typeIxLj4EELj4ELj16EEvPT_S3_.num_named_barrier, 0
	.set _Z18vector_test_kernelI15HIP_vector_typeIxLj4EELj4ELj16EEvPT_S3_.private_seg_size, 0
	.set _Z18vector_test_kernelI15HIP_vector_typeIxLj4EELj4ELj16EEvPT_S3_.uses_vcc, 0
	.set _Z18vector_test_kernelI15HIP_vector_typeIxLj4EELj4ELj16EEvPT_S3_.uses_flat_scratch, 0
	.set _Z18vector_test_kernelI15HIP_vector_typeIxLj4EELj4ELj16EEvPT_S3_.has_dyn_sized_stack, 0
	.set _Z18vector_test_kernelI15HIP_vector_typeIxLj4EELj4ELj16EEvPT_S3_.has_recursion, 0
	.set _Z18vector_test_kernelI15HIP_vector_typeIxLj4EELj4ELj16EEvPT_S3_.has_indirect_call, 0
	.section	.AMDGPU.csdata,"",@progbits
; Kernel info:
; codeLenInByte = 136
; TotalNumSgprs: 6
; NumVgprs: 6
; ScratchSize: 0
; MemoryBound: 1
; FloatMode: 240
; IeeeMode: 1
; LDSByteSize: 0 bytes/workgroup (compile time only)
; SGPRBlocks: 0
; VGPRBlocks: 0
; NumSGPRsForWavesPerEU: 6
; NumVGPRsForWavesPerEU: 6
; NamedBarCnt: 0
; Occupancy: 16
; WaveLimiterHint : 1
; COMPUTE_PGM_RSRC2:SCRATCH_EN: 0
; COMPUTE_PGM_RSRC2:USER_SGPR: 2
; COMPUTE_PGM_RSRC2:TRAP_HANDLER: 0
; COMPUTE_PGM_RSRC2:TGID_X_EN: 1
; COMPUTE_PGM_RSRC2:TGID_Y_EN: 0
; COMPUTE_PGM_RSRC2:TGID_Z_EN: 0
; COMPUTE_PGM_RSRC2:TIDIG_COMP_CNT: 0
	.section	.text._Z18vector_test_kernelI15HIP_vector_typeImLj4EELj4ELj16EEvPT_S3_,"axG",@progbits,_Z18vector_test_kernelI15HIP_vector_typeImLj4EELj4ELj16EEvPT_S3_,comdat
	.protected	_Z18vector_test_kernelI15HIP_vector_typeImLj4EELj4ELj16EEvPT_S3_ ; -- Begin function _Z18vector_test_kernelI15HIP_vector_typeImLj4EELj4ELj16EEvPT_S3_
	.globl	_Z18vector_test_kernelI15HIP_vector_typeImLj4EELj4ELj16EEvPT_S3_
	.p2align	8
	.type	_Z18vector_test_kernelI15HIP_vector_typeImLj4EELj4ELj16EEvPT_S3_,@function
_Z18vector_test_kernelI15HIP_vector_typeImLj4EELj4ELj16EEvPT_S3_: ; @_Z18vector_test_kernelI15HIP_vector_typeImLj4EELj4ELj16EEvPT_S3_
; %bb.0:
	s_bfe_u32 s2, ttmp6, 0x4000c
	s_load_b64 s[4:5], s[0:1], 0x8
	s_add_co_i32 s2, s2, 1
	s_wait_xcnt 0x0
	s_and_b32 s0, ttmp6, 15
	s_mul_i32 s1, ttmp9, s2
	s_getreg_b32 s2, hwreg(HW_REG_IB_STS2, 6, 4)
	s_add_co_i32 s0, s0, s1
	s_cmp_eq_u32 s2, 0
	v_mov_b32_e32 v1, 0
	s_cselect_b32 s0, ttmp9, s0
	s_delay_alu instid0(SALU_CYCLE_1) | instskip(SKIP_1) | instid1(SALU_CYCLE_1)
	v_lshl_add_u32 v0, s0, 4, v0
	s_mov_b32 s0, 0
	s_mov_b32 s1, s0
	;; [unrolled: 1-line block ×3, first 2 shown]
	s_delay_alu instid0(VALU_DEP_1) | instskip(SKIP_2) | instid1(VALU_DEP_1)
	v_lshlrev_b64_e32 v[0:1], 5, v[0:1]
	s_mov_b32 s3, s0
	s_wait_kmcnt 0x0
	v_add_nc_u64_e32 v[4:5], s[4:5], v[0:1]
	v_mov_b64_e32 v[0:1], s[0:1]
	v_mov_b64_e32 v[2:3], s[2:3]
	s_clause 0x1
	global_store_b128 v[4:5], v[0:3], off
	global_store_b128 v[4:5], v[0:3], off offset:16
	s_endpgm
	.section	.rodata,"a",@progbits
	.p2align	6, 0x0
	.amdhsa_kernel _Z18vector_test_kernelI15HIP_vector_typeImLj4EELj4ELj16EEvPT_S3_
		.amdhsa_group_segment_fixed_size 0
		.amdhsa_private_segment_fixed_size 0
		.amdhsa_kernarg_size 16
		.amdhsa_user_sgpr_count 2
		.amdhsa_user_sgpr_dispatch_ptr 0
		.amdhsa_user_sgpr_queue_ptr 0
		.amdhsa_user_sgpr_kernarg_segment_ptr 1
		.amdhsa_user_sgpr_dispatch_id 0
		.amdhsa_user_sgpr_kernarg_preload_length 0
		.amdhsa_user_sgpr_kernarg_preload_offset 0
		.amdhsa_user_sgpr_private_segment_size 0
		.amdhsa_wavefront_size32 1
		.amdhsa_uses_dynamic_stack 0
		.amdhsa_enable_private_segment 0
		.amdhsa_system_sgpr_workgroup_id_x 1
		.amdhsa_system_sgpr_workgroup_id_y 0
		.amdhsa_system_sgpr_workgroup_id_z 0
		.amdhsa_system_sgpr_workgroup_info 0
		.amdhsa_system_vgpr_workitem_id 0
		.amdhsa_next_free_vgpr 6
		.amdhsa_next_free_sgpr 6
		.amdhsa_named_barrier_count 0
		.amdhsa_reserve_vcc 0
		.amdhsa_float_round_mode_32 0
		.amdhsa_float_round_mode_16_64 0
		.amdhsa_float_denorm_mode_32 3
		.amdhsa_float_denorm_mode_16_64 3
		.amdhsa_fp16_overflow 0
		.amdhsa_memory_ordered 1
		.amdhsa_forward_progress 1
		.amdhsa_inst_pref_size 2
		.amdhsa_round_robin_scheduling 0
		.amdhsa_exception_fp_ieee_invalid_op 0
		.amdhsa_exception_fp_denorm_src 0
		.amdhsa_exception_fp_ieee_div_zero 0
		.amdhsa_exception_fp_ieee_overflow 0
		.amdhsa_exception_fp_ieee_underflow 0
		.amdhsa_exception_fp_ieee_inexact 0
		.amdhsa_exception_int_div_zero 0
	.end_amdhsa_kernel
	.section	.text._Z18vector_test_kernelI15HIP_vector_typeImLj4EELj4ELj16EEvPT_S3_,"axG",@progbits,_Z18vector_test_kernelI15HIP_vector_typeImLj4EELj4ELj16EEvPT_S3_,comdat
.Lfunc_end41:
	.size	_Z18vector_test_kernelI15HIP_vector_typeImLj4EELj4ELj16EEvPT_S3_, .Lfunc_end41-_Z18vector_test_kernelI15HIP_vector_typeImLj4EELj4ELj16EEvPT_S3_
                                        ; -- End function
	.set _Z18vector_test_kernelI15HIP_vector_typeImLj4EELj4ELj16EEvPT_S3_.num_vgpr, 6
	.set _Z18vector_test_kernelI15HIP_vector_typeImLj4EELj4ELj16EEvPT_S3_.num_agpr, 0
	.set _Z18vector_test_kernelI15HIP_vector_typeImLj4EELj4ELj16EEvPT_S3_.numbered_sgpr, 6
	.set _Z18vector_test_kernelI15HIP_vector_typeImLj4EELj4ELj16EEvPT_S3_.num_named_barrier, 0
	.set _Z18vector_test_kernelI15HIP_vector_typeImLj4EELj4ELj16EEvPT_S3_.private_seg_size, 0
	.set _Z18vector_test_kernelI15HIP_vector_typeImLj4EELj4ELj16EEvPT_S3_.uses_vcc, 0
	.set _Z18vector_test_kernelI15HIP_vector_typeImLj4EELj4ELj16EEvPT_S3_.uses_flat_scratch, 0
	.set _Z18vector_test_kernelI15HIP_vector_typeImLj4EELj4ELj16EEvPT_S3_.has_dyn_sized_stack, 0
	.set _Z18vector_test_kernelI15HIP_vector_typeImLj4EELj4ELj16EEvPT_S3_.has_recursion, 0
	.set _Z18vector_test_kernelI15HIP_vector_typeImLj4EELj4ELj16EEvPT_S3_.has_indirect_call, 0
	.section	.AMDGPU.csdata,"",@progbits
; Kernel info:
; codeLenInByte = 136
; TotalNumSgprs: 6
; NumVgprs: 6
; ScratchSize: 0
; MemoryBound: 1
; FloatMode: 240
; IeeeMode: 1
; LDSByteSize: 0 bytes/workgroup (compile time only)
; SGPRBlocks: 0
; VGPRBlocks: 0
; NumSGPRsForWavesPerEU: 6
; NumVGPRsForWavesPerEU: 6
; NamedBarCnt: 0
; Occupancy: 16
; WaveLimiterHint : 1
; COMPUTE_PGM_RSRC2:SCRATCH_EN: 0
; COMPUTE_PGM_RSRC2:USER_SGPR: 2
; COMPUTE_PGM_RSRC2:TRAP_HANDLER: 0
; COMPUTE_PGM_RSRC2:TGID_X_EN: 1
; COMPUTE_PGM_RSRC2:TGID_Y_EN: 0
; COMPUTE_PGM_RSRC2:TGID_Z_EN: 0
; COMPUTE_PGM_RSRC2:TIDIG_COMP_CNT: 0
	.section	.text._Z18vector_test_kernelI15HIP_vector_typeIlLj4EELj4ELj16EEvPT_S3_,"axG",@progbits,_Z18vector_test_kernelI15HIP_vector_typeIlLj4EELj4ELj16EEvPT_S3_,comdat
	.protected	_Z18vector_test_kernelI15HIP_vector_typeIlLj4EELj4ELj16EEvPT_S3_ ; -- Begin function _Z18vector_test_kernelI15HIP_vector_typeIlLj4EELj4ELj16EEvPT_S3_
	.globl	_Z18vector_test_kernelI15HIP_vector_typeIlLj4EELj4ELj16EEvPT_S3_
	.p2align	8
	.type	_Z18vector_test_kernelI15HIP_vector_typeIlLj4EELj4ELj16EEvPT_S3_,@function
_Z18vector_test_kernelI15HIP_vector_typeIlLj4EELj4ELj16EEvPT_S3_: ; @_Z18vector_test_kernelI15HIP_vector_typeIlLj4EELj4ELj16EEvPT_S3_
; %bb.0:
	s_bfe_u32 s2, ttmp6, 0x4000c
	s_load_b64 s[4:5], s[0:1], 0x8
	s_add_co_i32 s2, s2, 1
	s_wait_xcnt 0x0
	s_and_b32 s0, ttmp6, 15
	s_mul_i32 s1, ttmp9, s2
	s_getreg_b32 s2, hwreg(HW_REG_IB_STS2, 6, 4)
	s_add_co_i32 s0, s0, s1
	s_cmp_eq_u32 s2, 0
	v_mov_b32_e32 v1, 0
	s_cselect_b32 s0, ttmp9, s0
	s_delay_alu instid0(SALU_CYCLE_1) | instskip(SKIP_1) | instid1(SALU_CYCLE_1)
	v_lshl_add_u32 v0, s0, 4, v0
	s_mov_b32 s0, 0
	s_mov_b32 s1, s0
	;; [unrolled: 1-line block ×3, first 2 shown]
	s_delay_alu instid0(VALU_DEP_1) | instskip(SKIP_2) | instid1(VALU_DEP_1)
	v_lshlrev_b64_e32 v[0:1], 5, v[0:1]
	s_mov_b32 s3, s0
	s_wait_kmcnt 0x0
	v_add_nc_u64_e32 v[4:5], s[4:5], v[0:1]
	v_mov_b64_e32 v[0:1], s[0:1]
	v_mov_b64_e32 v[2:3], s[2:3]
	s_clause 0x1
	global_store_b128 v[4:5], v[0:3], off
	global_store_b128 v[4:5], v[0:3], off offset:16
	s_endpgm
	.section	.rodata,"a",@progbits
	.p2align	6, 0x0
	.amdhsa_kernel _Z18vector_test_kernelI15HIP_vector_typeIlLj4EELj4ELj16EEvPT_S3_
		.amdhsa_group_segment_fixed_size 0
		.amdhsa_private_segment_fixed_size 0
		.amdhsa_kernarg_size 16
		.amdhsa_user_sgpr_count 2
		.amdhsa_user_sgpr_dispatch_ptr 0
		.amdhsa_user_sgpr_queue_ptr 0
		.amdhsa_user_sgpr_kernarg_segment_ptr 1
		.amdhsa_user_sgpr_dispatch_id 0
		.amdhsa_user_sgpr_kernarg_preload_length 0
		.amdhsa_user_sgpr_kernarg_preload_offset 0
		.amdhsa_user_sgpr_private_segment_size 0
		.amdhsa_wavefront_size32 1
		.amdhsa_uses_dynamic_stack 0
		.amdhsa_enable_private_segment 0
		.amdhsa_system_sgpr_workgroup_id_x 1
		.amdhsa_system_sgpr_workgroup_id_y 0
		.amdhsa_system_sgpr_workgroup_id_z 0
		.amdhsa_system_sgpr_workgroup_info 0
		.amdhsa_system_vgpr_workitem_id 0
		.amdhsa_next_free_vgpr 6
		.amdhsa_next_free_sgpr 6
		.amdhsa_named_barrier_count 0
		.amdhsa_reserve_vcc 0
		.amdhsa_float_round_mode_32 0
		.amdhsa_float_round_mode_16_64 0
		.amdhsa_float_denorm_mode_32 3
		.amdhsa_float_denorm_mode_16_64 3
		.amdhsa_fp16_overflow 0
		.amdhsa_memory_ordered 1
		.amdhsa_forward_progress 1
		.amdhsa_inst_pref_size 2
		.amdhsa_round_robin_scheduling 0
		.amdhsa_exception_fp_ieee_invalid_op 0
		.amdhsa_exception_fp_denorm_src 0
		.amdhsa_exception_fp_ieee_div_zero 0
		.amdhsa_exception_fp_ieee_overflow 0
		.amdhsa_exception_fp_ieee_underflow 0
		.amdhsa_exception_fp_ieee_inexact 0
		.amdhsa_exception_int_div_zero 0
	.end_amdhsa_kernel
	.section	.text._Z18vector_test_kernelI15HIP_vector_typeIlLj4EELj4ELj16EEvPT_S3_,"axG",@progbits,_Z18vector_test_kernelI15HIP_vector_typeIlLj4EELj4ELj16EEvPT_S3_,comdat
.Lfunc_end42:
	.size	_Z18vector_test_kernelI15HIP_vector_typeIlLj4EELj4ELj16EEvPT_S3_, .Lfunc_end42-_Z18vector_test_kernelI15HIP_vector_typeIlLj4EELj4ELj16EEvPT_S3_
                                        ; -- End function
	.set _Z18vector_test_kernelI15HIP_vector_typeIlLj4EELj4ELj16EEvPT_S3_.num_vgpr, 6
	.set _Z18vector_test_kernelI15HIP_vector_typeIlLj4EELj4ELj16EEvPT_S3_.num_agpr, 0
	.set _Z18vector_test_kernelI15HIP_vector_typeIlLj4EELj4ELj16EEvPT_S3_.numbered_sgpr, 6
	.set _Z18vector_test_kernelI15HIP_vector_typeIlLj4EELj4ELj16EEvPT_S3_.num_named_barrier, 0
	.set _Z18vector_test_kernelI15HIP_vector_typeIlLj4EELj4ELj16EEvPT_S3_.private_seg_size, 0
	.set _Z18vector_test_kernelI15HIP_vector_typeIlLj4EELj4ELj16EEvPT_S3_.uses_vcc, 0
	.set _Z18vector_test_kernelI15HIP_vector_typeIlLj4EELj4ELj16EEvPT_S3_.uses_flat_scratch, 0
	.set _Z18vector_test_kernelI15HIP_vector_typeIlLj4EELj4ELj16EEvPT_S3_.has_dyn_sized_stack, 0
	.set _Z18vector_test_kernelI15HIP_vector_typeIlLj4EELj4ELj16EEvPT_S3_.has_recursion, 0
	.set _Z18vector_test_kernelI15HIP_vector_typeIlLj4EELj4ELj16EEvPT_S3_.has_indirect_call, 0
	.section	.AMDGPU.csdata,"",@progbits
; Kernel info:
; codeLenInByte = 136
; TotalNumSgprs: 6
; NumVgprs: 6
; ScratchSize: 0
; MemoryBound: 1
; FloatMode: 240
; IeeeMode: 1
; LDSByteSize: 0 bytes/workgroup (compile time only)
; SGPRBlocks: 0
; VGPRBlocks: 0
; NumSGPRsForWavesPerEU: 6
; NumVGPRsForWavesPerEU: 6
; NamedBarCnt: 0
; Occupancy: 16
; WaveLimiterHint : 1
; COMPUTE_PGM_RSRC2:SCRATCH_EN: 0
; COMPUTE_PGM_RSRC2:USER_SGPR: 2
; COMPUTE_PGM_RSRC2:TRAP_HANDLER: 0
; COMPUTE_PGM_RSRC2:TGID_X_EN: 1
; COMPUTE_PGM_RSRC2:TGID_Y_EN: 0
; COMPUTE_PGM_RSRC2:TGID_Z_EN: 0
; COMPUTE_PGM_RSRC2:TIDIG_COMP_CNT: 0
	.section	.text._Z18vector_test_kernelI15HIP_vector_typeIjLj4EELj4ELj16EEvPT_S3_,"axG",@progbits,_Z18vector_test_kernelI15HIP_vector_typeIjLj4EELj4ELj16EEvPT_S3_,comdat
	.protected	_Z18vector_test_kernelI15HIP_vector_typeIjLj4EELj4ELj16EEvPT_S3_ ; -- Begin function _Z18vector_test_kernelI15HIP_vector_typeIjLj4EELj4ELj16EEvPT_S3_
	.globl	_Z18vector_test_kernelI15HIP_vector_typeIjLj4EELj4ELj16EEvPT_S3_
	.p2align	8
	.type	_Z18vector_test_kernelI15HIP_vector_typeIjLj4EELj4ELj16EEvPT_S3_,@function
_Z18vector_test_kernelI15HIP_vector_typeIjLj4EELj4ELj16EEvPT_S3_: ; @_Z18vector_test_kernelI15HIP_vector_typeIjLj4EELj4ELj16EEvPT_S3_
; %bb.0:
	s_load_b64 s[0:1], s[0:1], 0x8
	s_bfe_u32 s2, ttmp6, 0x4000c
	s_and_b32 s3, ttmp6, 15
	s_add_co_i32 s2, s2, 1
	s_getreg_b32 s4, hwreg(HW_REG_IB_STS2, 6, 4)
	s_mul_i32 s2, ttmp9, s2
	v_mov_b32_e32 v2, 0
	s_add_co_i32 s3, s3, s2
	s_cmp_eq_u32 s4, 0
	s_cselect_b32 s2, ttmp9, s3
	s_delay_alu instid0(VALU_DEP_1)
	v_dual_mov_b32 v3, v2 :: v_dual_mov_b32 v4, v2
	v_lshl_add_u32 v0, s2, 4, v0
	v_mov_b32_e32 v5, v2
	s_wait_kmcnt 0x0
	global_store_b128 v0, v[2:5], s[0:1] scale_offset
	s_endpgm
	.section	.rodata,"a",@progbits
	.p2align	6, 0x0
	.amdhsa_kernel _Z18vector_test_kernelI15HIP_vector_typeIjLj4EELj4ELj16EEvPT_S3_
		.amdhsa_group_segment_fixed_size 0
		.amdhsa_private_segment_fixed_size 0
		.amdhsa_kernarg_size 16
		.amdhsa_user_sgpr_count 2
		.amdhsa_user_sgpr_dispatch_ptr 0
		.amdhsa_user_sgpr_queue_ptr 0
		.amdhsa_user_sgpr_kernarg_segment_ptr 1
		.amdhsa_user_sgpr_dispatch_id 0
		.amdhsa_user_sgpr_kernarg_preload_length 0
		.amdhsa_user_sgpr_kernarg_preload_offset 0
		.amdhsa_user_sgpr_private_segment_size 0
		.amdhsa_wavefront_size32 1
		.amdhsa_uses_dynamic_stack 0
		.amdhsa_enable_private_segment 0
		.amdhsa_system_sgpr_workgroup_id_x 1
		.amdhsa_system_sgpr_workgroup_id_y 0
		.amdhsa_system_sgpr_workgroup_id_z 0
		.amdhsa_system_sgpr_workgroup_info 0
		.amdhsa_system_vgpr_workitem_id 0
		.amdhsa_next_free_vgpr 6
		.amdhsa_next_free_sgpr 5
		.amdhsa_named_barrier_count 0
		.amdhsa_reserve_vcc 0
		.amdhsa_float_round_mode_32 0
		.amdhsa_float_round_mode_16_64 0
		.amdhsa_float_denorm_mode_32 3
		.amdhsa_float_denorm_mode_16_64 3
		.amdhsa_fp16_overflow 0
		.amdhsa_memory_ordered 1
		.amdhsa_forward_progress 1
		.amdhsa_inst_pref_size 1
		.amdhsa_round_robin_scheduling 0
		.amdhsa_exception_fp_ieee_invalid_op 0
		.amdhsa_exception_fp_denorm_src 0
		.amdhsa_exception_fp_ieee_div_zero 0
		.amdhsa_exception_fp_ieee_overflow 0
		.amdhsa_exception_fp_ieee_underflow 0
		.amdhsa_exception_fp_ieee_inexact 0
		.amdhsa_exception_int_div_zero 0
	.end_amdhsa_kernel
	.section	.text._Z18vector_test_kernelI15HIP_vector_typeIjLj4EELj4ELj16EEvPT_S3_,"axG",@progbits,_Z18vector_test_kernelI15HIP_vector_typeIjLj4EELj4ELj16EEvPT_S3_,comdat
.Lfunc_end43:
	.size	_Z18vector_test_kernelI15HIP_vector_typeIjLj4EELj4ELj16EEvPT_S3_, .Lfunc_end43-_Z18vector_test_kernelI15HIP_vector_typeIjLj4EELj4ELj16EEvPT_S3_
                                        ; -- End function
	.set _Z18vector_test_kernelI15HIP_vector_typeIjLj4EELj4ELj16EEvPT_S3_.num_vgpr, 6
	.set _Z18vector_test_kernelI15HIP_vector_typeIjLj4EELj4ELj16EEvPT_S3_.num_agpr, 0
	.set _Z18vector_test_kernelI15HIP_vector_typeIjLj4EELj4ELj16EEvPT_S3_.numbered_sgpr, 5
	.set _Z18vector_test_kernelI15HIP_vector_typeIjLj4EELj4ELj16EEvPT_S3_.num_named_barrier, 0
	.set _Z18vector_test_kernelI15HIP_vector_typeIjLj4EELj4ELj16EEvPT_S3_.private_seg_size, 0
	.set _Z18vector_test_kernelI15HIP_vector_typeIjLj4EELj4ELj16EEvPT_S3_.uses_vcc, 0
	.set _Z18vector_test_kernelI15HIP_vector_typeIjLj4EELj4ELj16EEvPT_S3_.uses_flat_scratch, 0
	.set _Z18vector_test_kernelI15HIP_vector_typeIjLj4EELj4ELj16EEvPT_S3_.has_dyn_sized_stack, 0
	.set _Z18vector_test_kernelI15HIP_vector_typeIjLj4EELj4ELj16EEvPT_S3_.has_recursion, 0
	.set _Z18vector_test_kernelI15HIP_vector_typeIjLj4EELj4ELj16EEvPT_S3_.has_indirect_call, 0
	.section	.AMDGPU.csdata,"",@progbits
; Kernel info:
; codeLenInByte = 92
; TotalNumSgprs: 5
; NumVgprs: 6
; ScratchSize: 0
; MemoryBound: 0
; FloatMode: 240
; IeeeMode: 1
; LDSByteSize: 0 bytes/workgroup (compile time only)
; SGPRBlocks: 0
; VGPRBlocks: 0
; NumSGPRsForWavesPerEU: 5
; NumVGPRsForWavesPerEU: 6
; NamedBarCnt: 0
; Occupancy: 16
; WaveLimiterHint : 0
; COMPUTE_PGM_RSRC2:SCRATCH_EN: 0
; COMPUTE_PGM_RSRC2:USER_SGPR: 2
; COMPUTE_PGM_RSRC2:TRAP_HANDLER: 0
; COMPUTE_PGM_RSRC2:TGID_X_EN: 1
; COMPUTE_PGM_RSRC2:TGID_Y_EN: 0
; COMPUTE_PGM_RSRC2:TGID_Z_EN: 0
; COMPUTE_PGM_RSRC2:TIDIG_COMP_CNT: 0
	.section	.text._Z18vector_test_kernelI15HIP_vector_typeIiLj4EELj4ELj16EEvPT_S3_,"axG",@progbits,_Z18vector_test_kernelI15HIP_vector_typeIiLj4EELj4ELj16EEvPT_S3_,comdat
	.protected	_Z18vector_test_kernelI15HIP_vector_typeIiLj4EELj4ELj16EEvPT_S3_ ; -- Begin function _Z18vector_test_kernelI15HIP_vector_typeIiLj4EELj4ELj16EEvPT_S3_
	.globl	_Z18vector_test_kernelI15HIP_vector_typeIiLj4EELj4ELj16EEvPT_S3_
	.p2align	8
	.type	_Z18vector_test_kernelI15HIP_vector_typeIiLj4EELj4ELj16EEvPT_S3_,@function
_Z18vector_test_kernelI15HIP_vector_typeIiLj4EELj4ELj16EEvPT_S3_: ; @_Z18vector_test_kernelI15HIP_vector_typeIiLj4EELj4ELj16EEvPT_S3_
; %bb.0:
	s_load_b64 s[0:1], s[0:1], 0x8
	s_bfe_u32 s2, ttmp6, 0x4000c
	s_and_b32 s3, ttmp6, 15
	s_add_co_i32 s2, s2, 1
	s_getreg_b32 s4, hwreg(HW_REG_IB_STS2, 6, 4)
	s_mul_i32 s2, ttmp9, s2
	v_mov_b32_e32 v2, 0
	s_add_co_i32 s3, s3, s2
	s_cmp_eq_u32 s4, 0
	s_cselect_b32 s2, ttmp9, s3
	s_delay_alu instid0(VALU_DEP_1)
	v_dual_mov_b32 v3, v2 :: v_dual_mov_b32 v4, v2
	v_lshl_add_u32 v0, s2, 4, v0
	v_mov_b32_e32 v5, v2
	s_wait_kmcnt 0x0
	global_store_b128 v0, v[2:5], s[0:1] scale_offset
	s_endpgm
	.section	.rodata,"a",@progbits
	.p2align	6, 0x0
	.amdhsa_kernel _Z18vector_test_kernelI15HIP_vector_typeIiLj4EELj4ELj16EEvPT_S3_
		.amdhsa_group_segment_fixed_size 0
		.amdhsa_private_segment_fixed_size 0
		.amdhsa_kernarg_size 16
		.amdhsa_user_sgpr_count 2
		.amdhsa_user_sgpr_dispatch_ptr 0
		.amdhsa_user_sgpr_queue_ptr 0
		.amdhsa_user_sgpr_kernarg_segment_ptr 1
		.amdhsa_user_sgpr_dispatch_id 0
		.amdhsa_user_sgpr_kernarg_preload_length 0
		.amdhsa_user_sgpr_kernarg_preload_offset 0
		.amdhsa_user_sgpr_private_segment_size 0
		.amdhsa_wavefront_size32 1
		.amdhsa_uses_dynamic_stack 0
		.amdhsa_enable_private_segment 0
		.amdhsa_system_sgpr_workgroup_id_x 1
		.amdhsa_system_sgpr_workgroup_id_y 0
		.amdhsa_system_sgpr_workgroup_id_z 0
		.amdhsa_system_sgpr_workgroup_info 0
		.amdhsa_system_vgpr_workitem_id 0
		.amdhsa_next_free_vgpr 6
		.amdhsa_next_free_sgpr 5
		.amdhsa_named_barrier_count 0
		.amdhsa_reserve_vcc 0
		.amdhsa_float_round_mode_32 0
		.amdhsa_float_round_mode_16_64 0
		.amdhsa_float_denorm_mode_32 3
		.amdhsa_float_denorm_mode_16_64 3
		.amdhsa_fp16_overflow 0
		.amdhsa_memory_ordered 1
		.amdhsa_forward_progress 1
		.amdhsa_inst_pref_size 1
		.amdhsa_round_robin_scheduling 0
		.amdhsa_exception_fp_ieee_invalid_op 0
		.amdhsa_exception_fp_denorm_src 0
		.amdhsa_exception_fp_ieee_div_zero 0
		.amdhsa_exception_fp_ieee_overflow 0
		.amdhsa_exception_fp_ieee_underflow 0
		.amdhsa_exception_fp_ieee_inexact 0
		.amdhsa_exception_int_div_zero 0
	.end_amdhsa_kernel
	.section	.text._Z18vector_test_kernelI15HIP_vector_typeIiLj4EELj4ELj16EEvPT_S3_,"axG",@progbits,_Z18vector_test_kernelI15HIP_vector_typeIiLj4EELj4ELj16EEvPT_S3_,comdat
.Lfunc_end44:
	.size	_Z18vector_test_kernelI15HIP_vector_typeIiLj4EELj4ELj16EEvPT_S3_, .Lfunc_end44-_Z18vector_test_kernelI15HIP_vector_typeIiLj4EELj4ELj16EEvPT_S3_
                                        ; -- End function
	.set _Z18vector_test_kernelI15HIP_vector_typeIiLj4EELj4ELj16EEvPT_S3_.num_vgpr, 6
	.set _Z18vector_test_kernelI15HIP_vector_typeIiLj4EELj4ELj16EEvPT_S3_.num_agpr, 0
	.set _Z18vector_test_kernelI15HIP_vector_typeIiLj4EELj4ELj16EEvPT_S3_.numbered_sgpr, 5
	.set _Z18vector_test_kernelI15HIP_vector_typeIiLj4EELj4ELj16EEvPT_S3_.num_named_barrier, 0
	.set _Z18vector_test_kernelI15HIP_vector_typeIiLj4EELj4ELj16EEvPT_S3_.private_seg_size, 0
	.set _Z18vector_test_kernelI15HIP_vector_typeIiLj4EELj4ELj16EEvPT_S3_.uses_vcc, 0
	.set _Z18vector_test_kernelI15HIP_vector_typeIiLj4EELj4ELj16EEvPT_S3_.uses_flat_scratch, 0
	.set _Z18vector_test_kernelI15HIP_vector_typeIiLj4EELj4ELj16EEvPT_S3_.has_dyn_sized_stack, 0
	.set _Z18vector_test_kernelI15HIP_vector_typeIiLj4EELj4ELj16EEvPT_S3_.has_recursion, 0
	.set _Z18vector_test_kernelI15HIP_vector_typeIiLj4EELj4ELj16EEvPT_S3_.has_indirect_call, 0
	.section	.AMDGPU.csdata,"",@progbits
; Kernel info:
; codeLenInByte = 92
; TotalNumSgprs: 5
; NumVgprs: 6
; ScratchSize: 0
; MemoryBound: 0
; FloatMode: 240
; IeeeMode: 1
; LDSByteSize: 0 bytes/workgroup (compile time only)
; SGPRBlocks: 0
; VGPRBlocks: 0
; NumSGPRsForWavesPerEU: 5
; NumVGPRsForWavesPerEU: 6
; NamedBarCnt: 0
; Occupancy: 16
; WaveLimiterHint : 0
; COMPUTE_PGM_RSRC2:SCRATCH_EN: 0
; COMPUTE_PGM_RSRC2:USER_SGPR: 2
; COMPUTE_PGM_RSRC2:TRAP_HANDLER: 0
; COMPUTE_PGM_RSRC2:TGID_X_EN: 1
; COMPUTE_PGM_RSRC2:TGID_Y_EN: 0
; COMPUTE_PGM_RSRC2:TGID_Z_EN: 0
; COMPUTE_PGM_RSRC2:TIDIG_COMP_CNT: 0
	.section	.text._Z18vector_test_kernelI15HIP_vector_typeItLj4EELj4ELj16EEvPT_S3_,"axG",@progbits,_Z18vector_test_kernelI15HIP_vector_typeItLj4EELj4ELj16EEvPT_S3_,comdat
	.protected	_Z18vector_test_kernelI15HIP_vector_typeItLj4EELj4ELj16EEvPT_S3_ ; -- Begin function _Z18vector_test_kernelI15HIP_vector_typeItLj4EELj4ELj16EEvPT_S3_
	.globl	_Z18vector_test_kernelI15HIP_vector_typeItLj4EELj4ELj16EEvPT_S3_
	.p2align	8
	.type	_Z18vector_test_kernelI15HIP_vector_typeItLj4EELj4ELj16EEvPT_S3_,@function
_Z18vector_test_kernelI15HIP_vector_typeItLj4EELj4ELj16EEvPT_S3_: ; @_Z18vector_test_kernelI15HIP_vector_typeItLj4EELj4ELj16EEvPT_S3_
; %bb.0:
	s_load_b64 s[0:1], s[0:1], 0x8
	s_bfe_u32 s2, ttmp6, 0x4000c
	s_and_b32 s3, ttmp6, 15
	s_add_co_i32 s2, s2, 1
	s_getreg_b32 s4, hwreg(HW_REG_IB_STS2, 6, 4)
	s_mul_i32 s2, ttmp9, s2
	v_mov_b64_e32 v[2:3], 0
	s_add_co_i32 s3, s3, s2
	s_cmp_eq_u32 s4, 0
	s_cselect_b32 s2, ttmp9, s3
	s_delay_alu instid0(SALU_CYCLE_1)
	v_lshl_add_u32 v0, s2, 4, v0
	s_wait_kmcnt 0x0
	global_store_b64 v0, v[2:3], s[0:1] scale_offset
	s_endpgm
	.section	.rodata,"a",@progbits
	.p2align	6, 0x0
	.amdhsa_kernel _Z18vector_test_kernelI15HIP_vector_typeItLj4EELj4ELj16EEvPT_S3_
		.amdhsa_group_segment_fixed_size 0
		.amdhsa_private_segment_fixed_size 0
		.amdhsa_kernarg_size 16
		.amdhsa_user_sgpr_count 2
		.amdhsa_user_sgpr_dispatch_ptr 0
		.amdhsa_user_sgpr_queue_ptr 0
		.amdhsa_user_sgpr_kernarg_segment_ptr 1
		.amdhsa_user_sgpr_dispatch_id 0
		.amdhsa_user_sgpr_kernarg_preload_length 0
		.amdhsa_user_sgpr_kernarg_preload_offset 0
		.amdhsa_user_sgpr_private_segment_size 0
		.amdhsa_wavefront_size32 1
		.amdhsa_uses_dynamic_stack 0
		.amdhsa_enable_private_segment 0
		.amdhsa_system_sgpr_workgroup_id_x 1
		.amdhsa_system_sgpr_workgroup_id_y 0
		.amdhsa_system_sgpr_workgroup_id_z 0
		.amdhsa_system_sgpr_workgroup_info 0
		.amdhsa_system_vgpr_workitem_id 0
		.amdhsa_next_free_vgpr 4
		.amdhsa_next_free_sgpr 5
		.amdhsa_named_barrier_count 0
		.amdhsa_reserve_vcc 0
		.amdhsa_float_round_mode_32 0
		.amdhsa_float_round_mode_16_64 0
		.amdhsa_float_denorm_mode_32 3
		.amdhsa_float_denorm_mode_16_64 3
		.amdhsa_fp16_overflow 0
		.amdhsa_memory_ordered 1
		.amdhsa_forward_progress 1
		.amdhsa_inst_pref_size 1
		.amdhsa_round_robin_scheduling 0
		.amdhsa_exception_fp_ieee_invalid_op 0
		.amdhsa_exception_fp_denorm_src 0
		.amdhsa_exception_fp_ieee_div_zero 0
		.amdhsa_exception_fp_ieee_overflow 0
		.amdhsa_exception_fp_ieee_underflow 0
		.amdhsa_exception_fp_ieee_inexact 0
		.amdhsa_exception_int_div_zero 0
	.end_amdhsa_kernel
	.section	.text._Z18vector_test_kernelI15HIP_vector_typeItLj4EELj4ELj16EEvPT_S3_,"axG",@progbits,_Z18vector_test_kernelI15HIP_vector_typeItLj4EELj4ELj16EEvPT_S3_,comdat
.Lfunc_end45:
	.size	_Z18vector_test_kernelI15HIP_vector_typeItLj4EELj4ELj16EEvPT_S3_, .Lfunc_end45-_Z18vector_test_kernelI15HIP_vector_typeItLj4EELj4ELj16EEvPT_S3_
                                        ; -- End function
	.set _Z18vector_test_kernelI15HIP_vector_typeItLj4EELj4ELj16EEvPT_S3_.num_vgpr, 4
	.set _Z18vector_test_kernelI15HIP_vector_typeItLj4EELj4ELj16EEvPT_S3_.num_agpr, 0
	.set _Z18vector_test_kernelI15HIP_vector_typeItLj4EELj4ELj16EEvPT_S3_.numbered_sgpr, 5
	.set _Z18vector_test_kernelI15HIP_vector_typeItLj4EELj4ELj16EEvPT_S3_.num_named_barrier, 0
	.set _Z18vector_test_kernelI15HIP_vector_typeItLj4EELj4ELj16EEvPT_S3_.private_seg_size, 0
	.set _Z18vector_test_kernelI15HIP_vector_typeItLj4EELj4ELj16EEvPT_S3_.uses_vcc, 0
	.set _Z18vector_test_kernelI15HIP_vector_typeItLj4EELj4ELj16EEvPT_S3_.uses_flat_scratch, 0
	.set _Z18vector_test_kernelI15HIP_vector_typeItLj4EELj4ELj16EEvPT_S3_.has_dyn_sized_stack, 0
	.set _Z18vector_test_kernelI15HIP_vector_typeItLj4EELj4ELj16EEvPT_S3_.has_recursion, 0
	.set _Z18vector_test_kernelI15HIP_vector_typeItLj4EELj4ELj16EEvPT_S3_.has_indirect_call, 0
	.section	.AMDGPU.csdata,"",@progbits
; Kernel info:
; codeLenInByte = 80
; TotalNumSgprs: 5
; NumVgprs: 4
; ScratchSize: 0
; MemoryBound: 0
; FloatMode: 240
; IeeeMode: 1
; LDSByteSize: 0 bytes/workgroup (compile time only)
; SGPRBlocks: 0
; VGPRBlocks: 0
; NumSGPRsForWavesPerEU: 5
; NumVGPRsForWavesPerEU: 4
; NamedBarCnt: 0
; Occupancy: 16
; WaveLimiterHint : 0
; COMPUTE_PGM_RSRC2:SCRATCH_EN: 0
; COMPUTE_PGM_RSRC2:USER_SGPR: 2
; COMPUTE_PGM_RSRC2:TRAP_HANDLER: 0
; COMPUTE_PGM_RSRC2:TGID_X_EN: 1
; COMPUTE_PGM_RSRC2:TGID_Y_EN: 0
; COMPUTE_PGM_RSRC2:TGID_Z_EN: 0
; COMPUTE_PGM_RSRC2:TIDIG_COMP_CNT: 0
	.section	.text._Z18vector_test_kernelI15HIP_vector_typeIsLj4EELj4ELj16EEvPT_S3_,"axG",@progbits,_Z18vector_test_kernelI15HIP_vector_typeIsLj4EELj4ELj16EEvPT_S3_,comdat
	.protected	_Z18vector_test_kernelI15HIP_vector_typeIsLj4EELj4ELj16EEvPT_S3_ ; -- Begin function _Z18vector_test_kernelI15HIP_vector_typeIsLj4EELj4ELj16EEvPT_S3_
	.globl	_Z18vector_test_kernelI15HIP_vector_typeIsLj4EELj4ELj16EEvPT_S3_
	.p2align	8
	.type	_Z18vector_test_kernelI15HIP_vector_typeIsLj4EELj4ELj16EEvPT_S3_,@function
_Z18vector_test_kernelI15HIP_vector_typeIsLj4EELj4ELj16EEvPT_S3_: ; @_Z18vector_test_kernelI15HIP_vector_typeIsLj4EELj4ELj16EEvPT_S3_
; %bb.0:
	s_load_b64 s[0:1], s[0:1], 0x8
	s_bfe_u32 s2, ttmp6, 0x4000c
	s_and_b32 s3, ttmp6, 15
	s_add_co_i32 s2, s2, 1
	s_getreg_b32 s4, hwreg(HW_REG_IB_STS2, 6, 4)
	s_mul_i32 s2, ttmp9, s2
	v_mov_b64_e32 v[2:3], 0
	s_add_co_i32 s3, s3, s2
	s_cmp_eq_u32 s4, 0
	s_cselect_b32 s2, ttmp9, s3
	s_delay_alu instid0(SALU_CYCLE_1)
	v_lshl_add_u32 v0, s2, 4, v0
	s_wait_kmcnt 0x0
	global_store_b64 v0, v[2:3], s[0:1] scale_offset
	s_endpgm
	.section	.rodata,"a",@progbits
	.p2align	6, 0x0
	.amdhsa_kernel _Z18vector_test_kernelI15HIP_vector_typeIsLj4EELj4ELj16EEvPT_S3_
		.amdhsa_group_segment_fixed_size 0
		.amdhsa_private_segment_fixed_size 0
		.amdhsa_kernarg_size 16
		.amdhsa_user_sgpr_count 2
		.amdhsa_user_sgpr_dispatch_ptr 0
		.amdhsa_user_sgpr_queue_ptr 0
		.amdhsa_user_sgpr_kernarg_segment_ptr 1
		.amdhsa_user_sgpr_dispatch_id 0
		.amdhsa_user_sgpr_kernarg_preload_length 0
		.amdhsa_user_sgpr_kernarg_preload_offset 0
		.amdhsa_user_sgpr_private_segment_size 0
		.amdhsa_wavefront_size32 1
		.amdhsa_uses_dynamic_stack 0
		.amdhsa_enable_private_segment 0
		.amdhsa_system_sgpr_workgroup_id_x 1
		.amdhsa_system_sgpr_workgroup_id_y 0
		.amdhsa_system_sgpr_workgroup_id_z 0
		.amdhsa_system_sgpr_workgroup_info 0
		.amdhsa_system_vgpr_workitem_id 0
		.amdhsa_next_free_vgpr 4
		.amdhsa_next_free_sgpr 5
		.amdhsa_named_barrier_count 0
		.amdhsa_reserve_vcc 0
		.amdhsa_float_round_mode_32 0
		.amdhsa_float_round_mode_16_64 0
		.amdhsa_float_denorm_mode_32 3
		.amdhsa_float_denorm_mode_16_64 3
		.amdhsa_fp16_overflow 0
		.amdhsa_memory_ordered 1
		.amdhsa_forward_progress 1
		.amdhsa_inst_pref_size 1
		.amdhsa_round_robin_scheduling 0
		.amdhsa_exception_fp_ieee_invalid_op 0
		.amdhsa_exception_fp_denorm_src 0
		.amdhsa_exception_fp_ieee_div_zero 0
		.amdhsa_exception_fp_ieee_overflow 0
		.amdhsa_exception_fp_ieee_underflow 0
		.amdhsa_exception_fp_ieee_inexact 0
		.amdhsa_exception_int_div_zero 0
	.end_amdhsa_kernel
	.section	.text._Z18vector_test_kernelI15HIP_vector_typeIsLj4EELj4ELj16EEvPT_S3_,"axG",@progbits,_Z18vector_test_kernelI15HIP_vector_typeIsLj4EELj4ELj16EEvPT_S3_,comdat
.Lfunc_end46:
	.size	_Z18vector_test_kernelI15HIP_vector_typeIsLj4EELj4ELj16EEvPT_S3_, .Lfunc_end46-_Z18vector_test_kernelI15HIP_vector_typeIsLj4EELj4ELj16EEvPT_S3_
                                        ; -- End function
	.set _Z18vector_test_kernelI15HIP_vector_typeIsLj4EELj4ELj16EEvPT_S3_.num_vgpr, 4
	.set _Z18vector_test_kernelI15HIP_vector_typeIsLj4EELj4ELj16EEvPT_S3_.num_agpr, 0
	.set _Z18vector_test_kernelI15HIP_vector_typeIsLj4EELj4ELj16EEvPT_S3_.numbered_sgpr, 5
	.set _Z18vector_test_kernelI15HIP_vector_typeIsLj4EELj4ELj16EEvPT_S3_.num_named_barrier, 0
	.set _Z18vector_test_kernelI15HIP_vector_typeIsLj4EELj4ELj16EEvPT_S3_.private_seg_size, 0
	.set _Z18vector_test_kernelI15HIP_vector_typeIsLj4EELj4ELj16EEvPT_S3_.uses_vcc, 0
	.set _Z18vector_test_kernelI15HIP_vector_typeIsLj4EELj4ELj16EEvPT_S3_.uses_flat_scratch, 0
	.set _Z18vector_test_kernelI15HIP_vector_typeIsLj4EELj4ELj16EEvPT_S3_.has_dyn_sized_stack, 0
	.set _Z18vector_test_kernelI15HIP_vector_typeIsLj4EELj4ELj16EEvPT_S3_.has_recursion, 0
	.set _Z18vector_test_kernelI15HIP_vector_typeIsLj4EELj4ELj16EEvPT_S3_.has_indirect_call, 0
	.section	.AMDGPU.csdata,"",@progbits
; Kernel info:
; codeLenInByte = 80
; TotalNumSgprs: 5
; NumVgprs: 4
; ScratchSize: 0
; MemoryBound: 0
; FloatMode: 240
; IeeeMode: 1
; LDSByteSize: 0 bytes/workgroup (compile time only)
; SGPRBlocks: 0
; VGPRBlocks: 0
; NumSGPRsForWavesPerEU: 5
; NumVGPRsForWavesPerEU: 4
; NamedBarCnt: 0
; Occupancy: 16
; WaveLimiterHint : 0
; COMPUTE_PGM_RSRC2:SCRATCH_EN: 0
; COMPUTE_PGM_RSRC2:USER_SGPR: 2
; COMPUTE_PGM_RSRC2:TRAP_HANDLER: 0
; COMPUTE_PGM_RSRC2:TGID_X_EN: 1
; COMPUTE_PGM_RSRC2:TGID_Y_EN: 0
; COMPUTE_PGM_RSRC2:TGID_Z_EN: 0
; COMPUTE_PGM_RSRC2:TIDIG_COMP_CNT: 0
	.section	.text._Z18vector_test_kernelI15HIP_vector_typeIcLj4EELj4ELj16EEvPT_S3_,"axG",@progbits,_Z18vector_test_kernelI15HIP_vector_typeIcLj4EELj4ELj16EEvPT_S3_,comdat
	.protected	_Z18vector_test_kernelI15HIP_vector_typeIcLj4EELj4ELj16EEvPT_S3_ ; -- Begin function _Z18vector_test_kernelI15HIP_vector_typeIcLj4EELj4ELj16EEvPT_S3_
	.globl	_Z18vector_test_kernelI15HIP_vector_typeIcLj4EELj4ELj16EEvPT_S3_
	.p2align	8
	.type	_Z18vector_test_kernelI15HIP_vector_typeIcLj4EELj4ELj16EEvPT_S3_,@function
_Z18vector_test_kernelI15HIP_vector_typeIcLj4EELj4ELj16EEvPT_S3_: ; @_Z18vector_test_kernelI15HIP_vector_typeIcLj4EELj4ELj16EEvPT_S3_
; %bb.0:
	s_load_b64 s[0:1], s[0:1], 0x8
	s_bfe_u32 s2, ttmp6, 0x4000c
	s_and_b32 s3, ttmp6, 15
	s_add_co_i32 s2, s2, 1
	s_getreg_b32 s4, hwreg(HW_REG_IB_STS2, 6, 4)
	s_mul_i32 s2, ttmp9, s2
	v_mov_b32_e32 v1, 0
	s_add_co_i32 s3, s3, s2
	s_cmp_eq_u32 s4, 0
	s_cselect_b32 s2, ttmp9, s3
	s_delay_alu instid0(SALU_CYCLE_1)
	v_lshl_add_u32 v0, s2, 4, v0
	s_wait_kmcnt 0x0
	global_store_b32 v0, v1, s[0:1] scale_offset
	s_endpgm
	.section	.rodata,"a",@progbits
	.p2align	6, 0x0
	.amdhsa_kernel _Z18vector_test_kernelI15HIP_vector_typeIcLj4EELj4ELj16EEvPT_S3_
		.amdhsa_group_segment_fixed_size 0
		.amdhsa_private_segment_fixed_size 0
		.amdhsa_kernarg_size 16
		.amdhsa_user_sgpr_count 2
		.amdhsa_user_sgpr_dispatch_ptr 0
		.amdhsa_user_sgpr_queue_ptr 0
		.amdhsa_user_sgpr_kernarg_segment_ptr 1
		.amdhsa_user_sgpr_dispatch_id 0
		.amdhsa_user_sgpr_kernarg_preload_length 0
		.amdhsa_user_sgpr_kernarg_preload_offset 0
		.amdhsa_user_sgpr_private_segment_size 0
		.amdhsa_wavefront_size32 1
		.amdhsa_uses_dynamic_stack 0
		.amdhsa_enable_private_segment 0
		.amdhsa_system_sgpr_workgroup_id_x 1
		.amdhsa_system_sgpr_workgroup_id_y 0
		.amdhsa_system_sgpr_workgroup_id_z 0
		.amdhsa_system_sgpr_workgroup_info 0
		.amdhsa_system_vgpr_workitem_id 0
		.amdhsa_next_free_vgpr 2
		.amdhsa_next_free_sgpr 5
		.amdhsa_named_barrier_count 0
		.amdhsa_reserve_vcc 0
		.amdhsa_float_round_mode_32 0
		.amdhsa_float_round_mode_16_64 0
		.amdhsa_float_denorm_mode_32 3
		.amdhsa_float_denorm_mode_16_64 3
		.amdhsa_fp16_overflow 0
		.amdhsa_memory_ordered 1
		.amdhsa_forward_progress 1
		.amdhsa_inst_pref_size 1
		.amdhsa_round_robin_scheduling 0
		.amdhsa_exception_fp_ieee_invalid_op 0
		.amdhsa_exception_fp_denorm_src 0
		.amdhsa_exception_fp_ieee_div_zero 0
		.amdhsa_exception_fp_ieee_overflow 0
		.amdhsa_exception_fp_ieee_underflow 0
		.amdhsa_exception_fp_ieee_inexact 0
		.amdhsa_exception_int_div_zero 0
	.end_amdhsa_kernel
	.section	.text._Z18vector_test_kernelI15HIP_vector_typeIcLj4EELj4ELj16EEvPT_S3_,"axG",@progbits,_Z18vector_test_kernelI15HIP_vector_typeIcLj4EELj4ELj16EEvPT_S3_,comdat
.Lfunc_end47:
	.size	_Z18vector_test_kernelI15HIP_vector_typeIcLj4EELj4ELj16EEvPT_S3_, .Lfunc_end47-_Z18vector_test_kernelI15HIP_vector_typeIcLj4EELj4ELj16EEvPT_S3_
                                        ; -- End function
	.set _Z18vector_test_kernelI15HIP_vector_typeIcLj4EELj4ELj16EEvPT_S3_.num_vgpr, 2
	.set _Z18vector_test_kernelI15HIP_vector_typeIcLj4EELj4ELj16EEvPT_S3_.num_agpr, 0
	.set _Z18vector_test_kernelI15HIP_vector_typeIcLj4EELj4ELj16EEvPT_S3_.numbered_sgpr, 5
	.set _Z18vector_test_kernelI15HIP_vector_typeIcLj4EELj4ELj16EEvPT_S3_.num_named_barrier, 0
	.set _Z18vector_test_kernelI15HIP_vector_typeIcLj4EELj4ELj16EEvPT_S3_.private_seg_size, 0
	.set _Z18vector_test_kernelI15HIP_vector_typeIcLj4EELj4ELj16EEvPT_S3_.uses_vcc, 0
	.set _Z18vector_test_kernelI15HIP_vector_typeIcLj4EELj4ELj16EEvPT_S3_.uses_flat_scratch, 0
	.set _Z18vector_test_kernelI15HIP_vector_typeIcLj4EELj4ELj16EEvPT_S3_.has_dyn_sized_stack, 0
	.set _Z18vector_test_kernelI15HIP_vector_typeIcLj4EELj4ELj16EEvPT_S3_.has_recursion, 0
	.set _Z18vector_test_kernelI15HIP_vector_typeIcLj4EELj4ELj16EEvPT_S3_.has_indirect_call, 0
	.section	.AMDGPU.csdata,"",@progbits
; Kernel info:
; codeLenInByte = 80
; TotalNumSgprs: 5
; NumVgprs: 2
; ScratchSize: 0
; MemoryBound: 0
; FloatMode: 240
; IeeeMode: 1
; LDSByteSize: 0 bytes/workgroup (compile time only)
; SGPRBlocks: 0
; VGPRBlocks: 0
; NumSGPRsForWavesPerEU: 5
; NumVGPRsForWavesPerEU: 2
; NamedBarCnt: 0
; Occupancy: 16
; WaveLimiterHint : 0
; COMPUTE_PGM_RSRC2:SCRATCH_EN: 0
; COMPUTE_PGM_RSRC2:USER_SGPR: 2
; COMPUTE_PGM_RSRC2:TRAP_HANDLER: 0
; COMPUTE_PGM_RSRC2:TGID_X_EN: 1
; COMPUTE_PGM_RSRC2:TGID_Y_EN: 0
; COMPUTE_PGM_RSRC2:TGID_Z_EN: 0
; COMPUTE_PGM_RSRC2:TIDIG_COMP_CNT: 0
	.section	.AMDGPU.gpr_maximums,"",@progbits
	.set amdgpu.max_num_vgpr, 0
	.set amdgpu.max_num_agpr, 0
	.set amdgpu.max_num_sgpr, 0
	.section	.AMDGPU.csdata,"",@progbits
	.type	__hip_cuid_651790b8f4335aec,@object ; @__hip_cuid_651790b8f4335aec
	.section	.bss,"aw",@nobits
	.globl	__hip_cuid_651790b8f4335aec
__hip_cuid_651790b8f4335aec:
	.byte	0                               ; 0x0
	.size	__hip_cuid_651790b8f4335aec, 1

	.ident	"AMD clang version 22.0.0git (https://github.com/RadeonOpenCompute/llvm-project roc-7.2.4 26084 f58b06dce1f9c15707c5f808fd002e18c2accf7e)"
	.section	".note.GNU-stack","",@progbits
	.addrsig
	.addrsig_sym __hip_cuid_651790b8f4335aec
	.amdgpu_metadata
---
amdhsa.kernels:
  - .args:
      - .address_space:  global
        .offset:         0
        .size:           8
        .value_kind:     global_buffer
      - .address_space:  global
        .offset:         8
        .size:           8
        .value_kind:     global_buffer
    .group_segment_fixed_size: 0
    .kernarg_segment_align: 8
    .kernarg_segment_size: 16
    .language:       OpenCL C
    .language_version:
      - 2
      - 0
    .max_flat_workgroup_size: 1024
    .name:           _Z18vector_test_kernelI15HIP_vector_typeIhLj1EELj1ELj16EEvPT_S3_
    .private_segment_fixed_size: 0
    .sgpr_count:     5
    .sgpr_spill_count: 0
    .symbol:         _Z18vector_test_kernelI15HIP_vector_typeIhLj1EELj1ELj16EEvPT_S3_.kd
    .uniform_work_group_size: 1
    .uses_dynamic_stack: false
    .vgpr_count:     2
    .vgpr_spill_count: 0
    .wavefront_size: 32
  - .args:
      - .address_space:  global
        .offset:         0
        .size:           8
        .value_kind:     global_buffer
      - .address_space:  global
        .offset:         8
        .size:           8
        .value_kind:     global_buffer
    .group_segment_fixed_size: 0
    .kernarg_segment_align: 8
    .kernarg_segment_size: 16
    .language:       OpenCL C
    .language_version:
      - 2
      - 0
    .max_flat_workgroup_size: 1024
    .name:           _Z18vector_test_kernelI15HIP_vector_typeIdLj1EELj1ELj16EEvPT_S3_
    .private_segment_fixed_size: 0
    .sgpr_count:     7
    .sgpr_spill_count: 0
    .symbol:         _Z18vector_test_kernelI15HIP_vector_typeIdLj1EELj1ELj16EEvPT_S3_.kd
    .uniform_work_group_size: 1
    .uses_dynamic_stack: false
    .vgpr_count:     3
    .vgpr_spill_count: 0
    .wavefront_size: 32
  - .args:
      - .address_space:  global
        .offset:         0
        .size:           8
        .value_kind:     global_buffer
      - .address_space:  global
        .offset:         8
        .size:           8
        .value_kind:     global_buffer
    .group_segment_fixed_size: 0
    .kernarg_segment_align: 8
    .kernarg_segment_size: 16
    .language:       OpenCL C
    .language_version:
      - 2
      - 0
    .max_flat_workgroup_size: 1024
    .name:           _Z18vector_test_kernelI15HIP_vector_typeIfLj1EELj1ELj16EEvPT_S3_
    .private_segment_fixed_size: 0
    .sgpr_count:     7
    .sgpr_spill_count: 0
    .symbol:         _Z18vector_test_kernelI15HIP_vector_typeIfLj1EELj1ELj16EEvPT_S3_.kd
    .uniform_work_group_size: 1
    .uses_dynamic_stack: false
    .vgpr_count:     2
    .vgpr_spill_count: 0
    .wavefront_size: 32
  - .args:
      - .address_space:  global
        .offset:         0
        .size:           8
        .value_kind:     global_buffer
      - .address_space:  global
        .offset:         8
        .size:           8
        .value_kind:     global_buffer
    .group_segment_fixed_size: 0
    .kernarg_segment_align: 8
    .kernarg_segment_size: 16
    .language:       OpenCL C
    .language_version:
      - 2
      - 0
    .max_flat_workgroup_size: 1024
    .name:           _Z18vector_test_kernelI15HIP_vector_typeIyLj1EELj1ELj16EEvPT_S3_
    .private_segment_fixed_size: 0
    .sgpr_count:     5
    .sgpr_spill_count: 0
    .symbol:         _Z18vector_test_kernelI15HIP_vector_typeIyLj1EELj1ELj16EEvPT_S3_.kd
    .uniform_work_group_size: 1
    .uses_dynamic_stack: false
    .vgpr_count:     4
    .vgpr_spill_count: 0
    .wavefront_size: 32
  - .args:
      - .address_space:  global
        .offset:         0
        .size:           8
        .value_kind:     global_buffer
      - .address_space:  global
        .offset:         8
        .size:           8
        .value_kind:     global_buffer
    .group_segment_fixed_size: 0
    .kernarg_segment_align: 8
    .kernarg_segment_size: 16
    .language:       OpenCL C
    .language_version:
      - 2
      - 0
    .max_flat_workgroup_size: 1024
    .name:           _Z18vector_test_kernelI15HIP_vector_typeIxLj1EELj1ELj16EEvPT_S3_
    .private_segment_fixed_size: 0
    .sgpr_count:     5
    .sgpr_spill_count: 0
    .symbol:         _Z18vector_test_kernelI15HIP_vector_typeIxLj1EELj1ELj16EEvPT_S3_.kd
    .uniform_work_group_size: 1
    .uses_dynamic_stack: false
    .vgpr_count:     4
    .vgpr_spill_count: 0
    .wavefront_size: 32
  - .args:
      - .address_space:  global
        .offset:         0
        .size:           8
        .value_kind:     global_buffer
      - .address_space:  global
        .offset:         8
        .size:           8
        .value_kind:     global_buffer
    .group_segment_fixed_size: 0
    .kernarg_segment_align: 8
    .kernarg_segment_size: 16
    .language:       OpenCL C
    .language_version:
      - 2
      - 0
    .max_flat_workgroup_size: 1024
    .name:           _Z18vector_test_kernelI15HIP_vector_typeImLj1EELj1ELj16EEvPT_S3_
    .private_segment_fixed_size: 0
    .sgpr_count:     5
    .sgpr_spill_count: 0
    .symbol:         _Z18vector_test_kernelI15HIP_vector_typeImLj1EELj1ELj16EEvPT_S3_.kd
    .uniform_work_group_size: 1
    .uses_dynamic_stack: false
    .vgpr_count:     4
    .vgpr_spill_count: 0
    .wavefront_size: 32
  - .args:
      - .address_space:  global
        .offset:         0
        .size:           8
        .value_kind:     global_buffer
      - .address_space:  global
        .offset:         8
        .size:           8
        .value_kind:     global_buffer
    .group_segment_fixed_size: 0
    .kernarg_segment_align: 8
    .kernarg_segment_size: 16
    .language:       OpenCL C
    .language_version:
      - 2
      - 0
    .max_flat_workgroup_size: 1024
    .name:           _Z18vector_test_kernelI15HIP_vector_typeIlLj1EELj1ELj16EEvPT_S3_
    .private_segment_fixed_size: 0
    .sgpr_count:     5
    .sgpr_spill_count: 0
    .symbol:         _Z18vector_test_kernelI15HIP_vector_typeIlLj1EELj1ELj16EEvPT_S3_.kd
    .uniform_work_group_size: 1
    .uses_dynamic_stack: false
    .vgpr_count:     4
    .vgpr_spill_count: 0
    .wavefront_size: 32
  - .args:
      - .address_space:  global
        .offset:         0
        .size:           8
        .value_kind:     global_buffer
      - .address_space:  global
        .offset:         8
        .size:           8
        .value_kind:     global_buffer
    .group_segment_fixed_size: 0
    .kernarg_segment_align: 8
    .kernarg_segment_size: 16
    .language:       OpenCL C
    .language_version:
      - 2
      - 0
    .max_flat_workgroup_size: 1024
    .name:           _Z18vector_test_kernelI15HIP_vector_typeIjLj1EELj1ELj16EEvPT_S3_
    .private_segment_fixed_size: 0
    .sgpr_count:     5
    .sgpr_spill_count: 0
    .symbol:         _Z18vector_test_kernelI15HIP_vector_typeIjLj1EELj1ELj16EEvPT_S3_.kd
    .uniform_work_group_size: 1
    .uses_dynamic_stack: false
    .vgpr_count:     2
    .vgpr_spill_count: 0
    .wavefront_size: 32
  - .args:
      - .address_space:  global
        .offset:         0
        .size:           8
        .value_kind:     global_buffer
      - .address_space:  global
        .offset:         8
        .size:           8
        .value_kind:     global_buffer
    .group_segment_fixed_size: 0
    .kernarg_segment_align: 8
    .kernarg_segment_size: 16
    .language:       OpenCL C
    .language_version:
      - 2
      - 0
    .max_flat_workgroup_size: 1024
    .name:           _Z18vector_test_kernelI15HIP_vector_typeIiLj1EELj1ELj16EEvPT_S3_
    .private_segment_fixed_size: 0
    .sgpr_count:     5
    .sgpr_spill_count: 0
    .symbol:         _Z18vector_test_kernelI15HIP_vector_typeIiLj1EELj1ELj16EEvPT_S3_.kd
    .uniform_work_group_size: 1
    .uses_dynamic_stack: false
    .vgpr_count:     2
    .vgpr_spill_count: 0
    .wavefront_size: 32
  - .args:
      - .address_space:  global
        .offset:         0
        .size:           8
        .value_kind:     global_buffer
      - .address_space:  global
        .offset:         8
        .size:           8
        .value_kind:     global_buffer
    .group_segment_fixed_size: 0
    .kernarg_segment_align: 8
    .kernarg_segment_size: 16
    .language:       OpenCL C
    .language_version:
      - 2
      - 0
    .max_flat_workgroup_size: 1024
    .name:           _Z18vector_test_kernelI15HIP_vector_typeItLj1EELj1ELj16EEvPT_S3_
    .private_segment_fixed_size: 0
    .sgpr_count:     5
    .sgpr_spill_count: 0
    .symbol:         _Z18vector_test_kernelI15HIP_vector_typeItLj1EELj1ELj16EEvPT_S3_.kd
    .uniform_work_group_size: 1
    .uses_dynamic_stack: false
    .vgpr_count:     2
    .vgpr_spill_count: 0
    .wavefront_size: 32
  - .args:
      - .address_space:  global
        .offset:         0
        .size:           8
        .value_kind:     global_buffer
      - .address_space:  global
        .offset:         8
        .size:           8
        .value_kind:     global_buffer
    .group_segment_fixed_size: 0
    .kernarg_segment_align: 8
    .kernarg_segment_size: 16
    .language:       OpenCL C
    .language_version:
      - 2
      - 0
    .max_flat_workgroup_size: 1024
    .name:           _Z18vector_test_kernelI15HIP_vector_typeIsLj1EELj1ELj16EEvPT_S3_
    .private_segment_fixed_size: 0
    .sgpr_count:     5
    .sgpr_spill_count: 0
    .symbol:         _Z18vector_test_kernelI15HIP_vector_typeIsLj1EELj1ELj16EEvPT_S3_.kd
    .uniform_work_group_size: 1
    .uses_dynamic_stack: false
    .vgpr_count:     2
    .vgpr_spill_count: 0
    .wavefront_size: 32
  - .args:
      - .address_space:  global
        .offset:         0
        .size:           8
        .value_kind:     global_buffer
      - .address_space:  global
        .offset:         8
        .size:           8
        .value_kind:     global_buffer
    .group_segment_fixed_size: 0
    .kernarg_segment_align: 8
    .kernarg_segment_size: 16
    .language:       OpenCL C
    .language_version:
      - 2
      - 0
    .max_flat_workgroup_size: 1024
    .name:           _Z18vector_test_kernelI15HIP_vector_typeIcLj1EELj1ELj16EEvPT_S3_
    .private_segment_fixed_size: 0
    .sgpr_count:     5
    .sgpr_spill_count: 0
    .symbol:         _Z18vector_test_kernelI15HIP_vector_typeIcLj1EELj1ELj16EEvPT_S3_.kd
    .uniform_work_group_size: 1
    .uses_dynamic_stack: false
    .vgpr_count:     2
    .vgpr_spill_count: 0
    .wavefront_size: 32
  - .args:
      - .address_space:  global
        .offset:         0
        .size:           8
        .value_kind:     global_buffer
      - .address_space:  global
        .offset:         8
        .size:           8
        .value_kind:     global_buffer
    .group_segment_fixed_size: 0
    .kernarg_segment_align: 8
    .kernarg_segment_size: 16
    .language:       OpenCL C
    .language_version:
      - 2
      - 0
    .max_flat_workgroup_size: 1024
    .name:           _Z18vector_test_kernelI15HIP_vector_typeIhLj2EELj2ELj16EEvPT_S3_
    .private_segment_fixed_size: 0
    .sgpr_count:     5
    .sgpr_spill_count: 0
    .symbol:         _Z18vector_test_kernelI15HIP_vector_typeIhLj2EELj2ELj16EEvPT_S3_.kd
    .uniform_work_group_size: 1
    .uses_dynamic_stack: false
    .vgpr_count:     2
    .vgpr_spill_count: 0
    .wavefront_size: 32
  - .args:
      - .address_space:  global
        .offset:         0
        .size:           8
        .value_kind:     global_buffer
      - .address_space:  global
        .offset:         8
        .size:           8
        .value_kind:     global_buffer
    .group_segment_fixed_size: 0
    .kernarg_segment_align: 8
    .kernarg_segment_size: 16
    .language:       OpenCL C
    .language_version:
      - 2
      - 0
    .max_flat_workgroup_size: 1024
    .name:           _Z18vector_test_kernelI15HIP_vector_typeIdLj2EELj2ELj16EEvPT_S3_
    .private_segment_fixed_size: 0
    .sgpr_count:     7
    .sgpr_spill_count: 0
    .symbol:         _Z18vector_test_kernelI15HIP_vector_typeIdLj2EELj2ELj16EEvPT_S3_.kd
    .uniform_work_group_size: 1
    .uses_dynamic_stack: false
    .vgpr_count:     5
    .vgpr_spill_count: 0
    .wavefront_size: 32
  - .args:
      - .address_space:  global
        .offset:         0
        .size:           8
        .value_kind:     global_buffer
      - .address_space:  global
        .offset:         8
        .size:           8
        .value_kind:     global_buffer
    .group_segment_fixed_size: 0
    .kernarg_segment_align: 8
    .kernarg_segment_size: 16
    .language:       OpenCL C
    .language_version:
      - 2
      - 0
    .max_flat_workgroup_size: 1024
    .name:           _Z18vector_test_kernelI15HIP_vector_typeIfLj2EELj2ELj16EEvPT_S3_
    .private_segment_fixed_size: 0
    .sgpr_count:     7
    .sgpr_spill_count: 0
    .symbol:         _Z18vector_test_kernelI15HIP_vector_typeIfLj2EELj2ELj16EEvPT_S3_.kd
    .uniform_work_group_size: 1
    .uses_dynamic_stack: false
    .vgpr_count:     3
    .vgpr_spill_count: 0
    .wavefront_size: 32
  - .args:
      - .address_space:  global
        .offset:         0
        .size:           8
        .value_kind:     global_buffer
      - .address_space:  global
        .offset:         8
        .size:           8
        .value_kind:     global_buffer
    .group_segment_fixed_size: 0
    .kernarg_segment_align: 8
    .kernarg_segment_size: 16
    .language:       OpenCL C
    .language_version:
      - 2
      - 0
    .max_flat_workgroup_size: 1024
    .name:           _Z18vector_test_kernelI15HIP_vector_typeIyLj2EELj2ELj16EEvPT_S3_
    .private_segment_fixed_size: 0
    .sgpr_count:     5
    .sgpr_spill_count: 0
    .symbol:         _Z18vector_test_kernelI15HIP_vector_typeIyLj2EELj2ELj16EEvPT_S3_.kd
    .uniform_work_group_size: 1
    .uses_dynamic_stack: false
    .vgpr_count:     6
    .vgpr_spill_count: 0
    .wavefront_size: 32
  - .args:
      - .address_space:  global
        .offset:         0
        .size:           8
        .value_kind:     global_buffer
      - .address_space:  global
        .offset:         8
        .size:           8
        .value_kind:     global_buffer
    .group_segment_fixed_size: 0
    .kernarg_segment_align: 8
    .kernarg_segment_size: 16
    .language:       OpenCL C
    .language_version:
      - 2
      - 0
    .max_flat_workgroup_size: 1024
    .name:           _Z18vector_test_kernelI15HIP_vector_typeIxLj2EELj2ELj16EEvPT_S3_
    .private_segment_fixed_size: 0
    .sgpr_count:     5
    .sgpr_spill_count: 0
    .symbol:         _Z18vector_test_kernelI15HIP_vector_typeIxLj2EELj2ELj16EEvPT_S3_.kd
    .uniform_work_group_size: 1
    .uses_dynamic_stack: false
    .vgpr_count:     6
    .vgpr_spill_count: 0
    .wavefront_size: 32
  - .args:
      - .address_space:  global
        .offset:         0
        .size:           8
        .value_kind:     global_buffer
      - .address_space:  global
        .offset:         8
        .size:           8
        .value_kind:     global_buffer
    .group_segment_fixed_size: 0
    .kernarg_segment_align: 8
    .kernarg_segment_size: 16
    .language:       OpenCL C
    .language_version:
      - 2
      - 0
    .max_flat_workgroup_size: 1024
    .name:           _Z18vector_test_kernelI15HIP_vector_typeImLj2EELj2ELj16EEvPT_S3_
    .private_segment_fixed_size: 0
    .sgpr_count:     5
    .sgpr_spill_count: 0
    .symbol:         _Z18vector_test_kernelI15HIP_vector_typeImLj2EELj2ELj16EEvPT_S3_.kd
    .uniform_work_group_size: 1
    .uses_dynamic_stack: false
    .vgpr_count:     6
    .vgpr_spill_count: 0
    .wavefront_size: 32
  - .args:
      - .address_space:  global
        .offset:         0
        .size:           8
        .value_kind:     global_buffer
      - .address_space:  global
        .offset:         8
        .size:           8
        .value_kind:     global_buffer
    .group_segment_fixed_size: 0
    .kernarg_segment_align: 8
    .kernarg_segment_size: 16
    .language:       OpenCL C
    .language_version:
      - 2
      - 0
    .max_flat_workgroup_size: 1024
    .name:           _Z18vector_test_kernelI15HIP_vector_typeIlLj2EELj2ELj16EEvPT_S3_
    .private_segment_fixed_size: 0
    .sgpr_count:     5
    .sgpr_spill_count: 0
    .symbol:         _Z18vector_test_kernelI15HIP_vector_typeIlLj2EELj2ELj16EEvPT_S3_.kd
    .uniform_work_group_size: 1
    .uses_dynamic_stack: false
    .vgpr_count:     6
    .vgpr_spill_count: 0
    .wavefront_size: 32
  - .args:
      - .address_space:  global
        .offset:         0
        .size:           8
        .value_kind:     global_buffer
      - .address_space:  global
        .offset:         8
        .size:           8
        .value_kind:     global_buffer
    .group_segment_fixed_size: 0
    .kernarg_segment_align: 8
    .kernarg_segment_size: 16
    .language:       OpenCL C
    .language_version:
      - 2
      - 0
    .max_flat_workgroup_size: 1024
    .name:           _Z18vector_test_kernelI15HIP_vector_typeIjLj2EELj2ELj16EEvPT_S3_
    .private_segment_fixed_size: 0
    .sgpr_count:     5
    .sgpr_spill_count: 0
    .symbol:         _Z18vector_test_kernelI15HIP_vector_typeIjLj2EELj2ELj16EEvPT_S3_.kd
    .uniform_work_group_size: 1
    .uses_dynamic_stack: false
    .vgpr_count:     4
    .vgpr_spill_count: 0
    .wavefront_size: 32
  - .args:
      - .address_space:  global
        .offset:         0
        .size:           8
        .value_kind:     global_buffer
      - .address_space:  global
        .offset:         8
        .size:           8
        .value_kind:     global_buffer
    .group_segment_fixed_size: 0
    .kernarg_segment_align: 8
    .kernarg_segment_size: 16
    .language:       OpenCL C
    .language_version:
      - 2
      - 0
    .max_flat_workgroup_size: 1024
    .name:           _Z18vector_test_kernelI15HIP_vector_typeIiLj2EELj2ELj16EEvPT_S3_
    .private_segment_fixed_size: 0
    .sgpr_count:     5
    .sgpr_spill_count: 0
    .symbol:         _Z18vector_test_kernelI15HIP_vector_typeIiLj2EELj2ELj16EEvPT_S3_.kd
    .uniform_work_group_size: 1
    .uses_dynamic_stack: false
    .vgpr_count:     4
    .vgpr_spill_count: 0
    .wavefront_size: 32
  - .args:
      - .address_space:  global
        .offset:         0
        .size:           8
        .value_kind:     global_buffer
      - .address_space:  global
        .offset:         8
        .size:           8
        .value_kind:     global_buffer
    .group_segment_fixed_size: 0
    .kernarg_segment_align: 8
    .kernarg_segment_size: 16
    .language:       OpenCL C
    .language_version:
      - 2
      - 0
    .max_flat_workgroup_size: 1024
    .name:           _Z18vector_test_kernelI15HIP_vector_typeItLj2EELj2ELj16EEvPT_S3_
    .private_segment_fixed_size: 0
    .sgpr_count:     5
    .sgpr_spill_count: 0
    .symbol:         _Z18vector_test_kernelI15HIP_vector_typeItLj2EELj2ELj16EEvPT_S3_.kd
    .uniform_work_group_size: 1
    .uses_dynamic_stack: false
    .vgpr_count:     2
    .vgpr_spill_count: 0
    .wavefront_size: 32
  - .args:
      - .address_space:  global
        .offset:         0
        .size:           8
        .value_kind:     global_buffer
      - .address_space:  global
        .offset:         8
        .size:           8
        .value_kind:     global_buffer
    .group_segment_fixed_size: 0
    .kernarg_segment_align: 8
    .kernarg_segment_size: 16
    .language:       OpenCL C
    .language_version:
      - 2
      - 0
    .max_flat_workgroup_size: 1024
    .name:           _Z18vector_test_kernelI15HIP_vector_typeIsLj2EELj2ELj16EEvPT_S3_
    .private_segment_fixed_size: 0
    .sgpr_count:     5
    .sgpr_spill_count: 0
    .symbol:         _Z18vector_test_kernelI15HIP_vector_typeIsLj2EELj2ELj16EEvPT_S3_.kd
    .uniform_work_group_size: 1
    .uses_dynamic_stack: false
    .vgpr_count:     2
    .vgpr_spill_count: 0
    .wavefront_size: 32
  - .args:
      - .address_space:  global
        .offset:         0
        .size:           8
        .value_kind:     global_buffer
      - .address_space:  global
        .offset:         8
        .size:           8
        .value_kind:     global_buffer
    .group_segment_fixed_size: 0
    .kernarg_segment_align: 8
    .kernarg_segment_size: 16
    .language:       OpenCL C
    .language_version:
      - 2
      - 0
    .max_flat_workgroup_size: 1024
    .name:           _Z18vector_test_kernelI15HIP_vector_typeIcLj2EELj2ELj16EEvPT_S3_
    .private_segment_fixed_size: 0
    .sgpr_count:     5
    .sgpr_spill_count: 0
    .symbol:         _Z18vector_test_kernelI15HIP_vector_typeIcLj2EELj2ELj16EEvPT_S3_.kd
    .uniform_work_group_size: 1
    .uses_dynamic_stack: false
    .vgpr_count:     2
    .vgpr_spill_count: 0
    .wavefront_size: 32
  - .args:
      - .address_space:  global
        .offset:         0
        .size:           8
        .value_kind:     global_buffer
      - .address_space:  global
        .offset:         8
        .size:           8
        .value_kind:     global_buffer
    .group_segment_fixed_size: 0
    .kernarg_segment_align: 8
    .kernarg_segment_size: 16
    .language:       OpenCL C
    .language_version:
      - 2
      - 0
    .max_flat_workgroup_size: 1024
    .name:           _Z18vector_test_kernelI15HIP_vector_typeIhLj3EELj3ELj16EEvPT_S3_
    .private_segment_fixed_size: 0
    .sgpr_count:     5
    .sgpr_spill_count: 0
    .symbol:         _Z18vector_test_kernelI15HIP_vector_typeIhLj3EELj3ELj16EEvPT_S3_.kd
    .uniform_work_group_size: 1
    .uses_dynamic_stack: false
    .vgpr_count:     3
    .vgpr_spill_count: 0
    .wavefront_size: 32
  - .args:
      - .address_space:  global
        .offset:         0
        .size:           8
        .value_kind:     global_buffer
      - .address_space:  global
        .offset:         8
        .size:           8
        .value_kind:     global_buffer
    .group_segment_fixed_size: 0
    .kernarg_segment_align: 8
    .kernarg_segment_size: 16
    .language:       OpenCL C
    .language_version:
      - 2
      - 0
    .max_flat_workgroup_size: 1024
    .name:           _Z18vector_test_kernelI15HIP_vector_typeIdLj3EELj3ELj16EEvPT_S3_
    .private_segment_fixed_size: 0
    .sgpr_count:     7
    .sgpr_spill_count: 0
    .symbol:         _Z18vector_test_kernelI15HIP_vector_typeIdLj3EELj3ELj16EEvPT_S3_.kd
    .uniform_work_group_size: 1
    .uses_dynamic_stack: false
    .vgpr_count:     9
    .vgpr_spill_count: 0
    .wavefront_size: 32
  - .args:
      - .address_space:  global
        .offset:         0
        .size:           8
        .value_kind:     global_buffer
      - .address_space:  global
        .offset:         8
        .size:           8
        .value_kind:     global_buffer
    .group_segment_fixed_size: 0
    .kernarg_segment_align: 8
    .kernarg_segment_size: 16
    .language:       OpenCL C
    .language_version:
      - 2
      - 0
    .max_flat_workgroup_size: 1024
    .name:           _Z18vector_test_kernelI15HIP_vector_typeIfLj3EELj3ELj16EEvPT_S3_
    .private_segment_fixed_size: 0
    .sgpr_count:     7
    .sgpr_spill_count: 0
    .symbol:         _Z18vector_test_kernelI15HIP_vector_typeIfLj3EELj3ELj16EEvPT_S3_.kd
    .uniform_work_group_size: 1
    .uses_dynamic_stack: false
    .vgpr_count:     6
    .vgpr_spill_count: 0
    .wavefront_size: 32
  - .args:
      - .address_space:  global
        .offset:         0
        .size:           8
        .value_kind:     global_buffer
      - .address_space:  global
        .offset:         8
        .size:           8
        .value_kind:     global_buffer
    .group_segment_fixed_size: 0
    .kernarg_segment_align: 8
    .kernarg_segment_size: 16
    .language:       OpenCL C
    .language_version:
      - 2
      - 0
    .max_flat_workgroup_size: 1024
    .name:           _Z18vector_test_kernelI15HIP_vector_typeIyLj3EELj3ELj16EEvPT_S3_
    .private_segment_fixed_size: 0
    .sgpr_count:     5
    .sgpr_spill_count: 0
    .symbol:         _Z18vector_test_kernelI15HIP_vector_typeIyLj3EELj3ELj16EEvPT_S3_.kd
    .uniform_work_group_size: 1
    .uses_dynamic_stack: false
    .vgpr_count:     8
    .vgpr_spill_count: 0
    .wavefront_size: 32
  - .args:
      - .address_space:  global
        .offset:         0
        .size:           8
        .value_kind:     global_buffer
      - .address_space:  global
        .offset:         8
        .size:           8
        .value_kind:     global_buffer
    .group_segment_fixed_size: 0
    .kernarg_segment_align: 8
    .kernarg_segment_size: 16
    .language:       OpenCL C
    .language_version:
      - 2
      - 0
    .max_flat_workgroup_size: 1024
    .name:           _Z18vector_test_kernelI15HIP_vector_typeIxLj3EELj3ELj16EEvPT_S3_
    .private_segment_fixed_size: 0
    .sgpr_count:     5
    .sgpr_spill_count: 0
    .symbol:         _Z18vector_test_kernelI15HIP_vector_typeIxLj3EELj3ELj16EEvPT_S3_.kd
    .uniform_work_group_size: 1
    .uses_dynamic_stack: false
    .vgpr_count:     8
    .vgpr_spill_count: 0
    .wavefront_size: 32
  - .args:
      - .address_space:  global
        .offset:         0
        .size:           8
        .value_kind:     global_buffer
      - .address_space:  global
        .offset:         8
        .size:           8
        .value_kind:     global_buffer
    .group_segment_fixed_size: 0
    .kernarg_segment_align: 8
    .kernarg_segment_size: 16
    .language:       OpenCL C
    .language_version:
      - 2
      - 0
    .max_flat_workgroup_size: 1024
    .name:           _Z18vector_test_kernelI15HIP_vector_typeImLj3EELj3ELj16EEvPT_S3_
    .private_segment_fixed_size: 0
    .sgpr_count:     5
    .sgpr_spill_count: 0
    .symbol:         _Z18vector_test_kernelI15HIP_vector_typeImLj3EELj3ELj16EEvPT_S3_.kd
    .uniform_work_group_size: 1
    .uses_dynamic_stack: false
    .vgpr_count:     8
    .vgpr_spill_count: 0
    .wavefront_size: 32
  - .args:
      - .address_space:  global
        .offset:         0
        .size:           8
        .value_kind:     global_buffer
      - .address_space:  global
        .offset:         8
        .size:           8
        .value_kind:     global_buffer
    .group_segment_fixed_size: 0
    .kernarg_segment_align: 8
    .kernarg_segment_size: 16
    .language:       OpenCL C
    .language_version:
      - 2
      - 0
    .max_flat_workgroup_size: 1024
    .name:           _Z18vector_test_kernelI15HIP_vector_typeIlLj3EELj3ELj16EEvPT_S3_
    .private_segment_fixed_size: 0
    .sgpr_count:     5
    .sgpr_spill_count: 0
    .symbol:         _Z18vector_test_kernelI15HIP_vector_typeIlLj3EELj3ELj16EEvPT_S3_.kd
    .uniform_work_group_size: 1
    .uses_dynamic_stack: false
    .vgpr_count:     8
    .vgpr_spill_count: 0
    .wavefront_size: 32
  - .args:
      - .address_space:  global
        .offset:         0
        .size:           8
        .value_kind:     global_buffer
      - .address_space:  global
        .offset:         8
        .size:           8
        .value_kind:     global_buffer
    .group_segment_fixed_size: 0
    .kernarg_segment_align: 8
    .kernarg_segment_size: 16
    .language:       OpenCL C
    .language_version:
      - 2
      - 0
    .max_flat_workgroup_size: 1024
    .name:           _Z18vector_test_kernelI15HIP_vector_typeIjLj3EELj3ELj16EEvPT_S3_
    .private_segment_fixed_size: 0
    .sgpr_count:     5
    .sgpr_spill_count: 0
    .symbol:         _Z18vector_test_kernelI15HIP_vector_typeIjLj3EELj3ELj16EEvPT_S3_.kd
    .uniform_work_group_size: 1
    .uses_dynamic_stack: false
    .vgpr_count:     6
    .vgpr_spill_count: 0
    .wavefront_size: 32
  - .args:
      - .address_space:  global
        .offset:         0
        .size:           8
        .value_kind:     global_buffer
      - .address_space:  global
        .offset:         8
        .size:           8
        .value_kind:     global_buffer
    .group_segment_fixed_size: 0
    .kernarg_segment_align: 8
    .kernarg_segment_size: 16
    .language:       OpenCL C
    .language_version:
      - 2
      - 0
    .max_flat_workgroup_size: 1024
    .name:           _Z18vector_test_kernelI15HIP_vector_typeIiLj3EELj3ELj16EEvPT_S3_
    .private_segment_fixed_size: 0
    .sgpr_count:     5
    .sgpr_spill_count: 0
    .symbol:         _Z18vector_test_kernelI15HIP_vector_typeIiLj3EELj3ELj16EEvPT_S3_.kd
    .uniform_work_group_size: 1
    .uses_dynamic_stack: false
    .vgpr_count:     6
    .vgpr_spill_count: 0
    .wavefront_size: 32
  - .args:
      - .address_space:  global
        .offset:         0
        .size:           8
        .value_kind:     global_buffer
      - .address_space:  global
        .offset:         8
        .size:           8
        .value_kind:     global_buffer
    .group_segment_fixed_size: 0
    .kernarg_segment_align: 8
    .kernarg_segment_size: 16
    .language:       OpenCL C
    .language_version:
      - 2
      - 0
    .max_flat_workgroup_size: 1024
    .name:           _Z18vector_test_kernelI15HIP_vector_typeItLj3EELj3ELj16EEvPT_S3_
    .private_segment_fixed_size: 0
    .sgpr_count:     5
    .sgpr_spill_count: 0
    .symbol:         _Z18vector_test_kernelI15HIP_vector_typeItLj3EELj3ELj16EEvPT_S3_.kd
    .uniform_work_group_size: 1
    .uses_dynamic_stack: false
    .vgpr_count:     3
    .vgpr_spill_count: 0
    .wavefront_size: 32
  - .args:
      - .address_space:  global
        .offset:         0
        .size:           8
        .value_kind:     global_buffer
      - .address_space:  global
        .offset:         8
        .size:           8
        .value_kind:     global_buffer
    .group_segment_fixed_size: 0
    .kernarg_segment_align: 8
    .kernarg_segment_size: 16
    .language:       OpenCL C
    .language_version:
      - 2
      - 0
    .max_flat_workgroup_size: 1024
    .name:           _Z18vector_test_kernelI15HIP_vector_typeIsLj3EELj3ELj16EEvPT_S3_
    .private_segment_fixed_size: 0
    .sgpr_count:     5
    .sgpr_spill_count: 0
    .symbol:         _Z18vector_test_kernelI15HIP_vector_typeIsLj3EELj3ELj16EEvPT_S3_.kd
    .uniform_work_group_size: 1
    .uses_dynamic_stack: false
    .vgpr_count:     3
    .vgpr_spill_count: 0
    .wavefront_size: 32
  - .args:
      - .address_space:  global
        .offset:         0
        .size:           8
        .value_kind:     global_buffer
      - .address_space:  global
        .offset:         8
        .size:           8
        .value_kind:     global_buffer
    .group_segment_fixed_size: 0
    .kernarg_segment_align: 8
    .kernarg_segment_size: 16
    .language:       OpenCL C
    .language_version:
      - 2
      - 0
    .max_flat_workgroup_size: 1024
    .name:           _Z18vector_test_kernelI15HIP_vector_typeIcLj3EELj3ELj16EEvPT_S3_
    .private_segment_fixed_size: 0
    .sgpr_count:     5
    .sgpr_spill_count: 0
    .symbol:         _Z18vector_test_kernelI15HIP_vector_typeIcLj3EELj3ELj16EEvPT_S3_.kd
    .uniform_work_group_size: 1
    .uses_dynamic_stack: false
    .vgpr_count:     3
    .vgpr_spill_count: 0
    .wavefront_size: 32
  - .args:
      - .address_space:  global
        .offset:         0
        .size:           8
        .value_kind:     global_buffer
      - .address_space:  global
        .offset:         8
        .size:           8
        .value_kind:     global_buffer
    .group_segment_fixed_size: 0
    .kernarg_segment_align: 8
    .kernarg_segment_size: 16
    .language:       OpenCL C
    .language_version:
      - 2
      - 0
    .max_flat_workgroup_size: 1024
    .name:           _Z18vector_test_kernelI15HIP_vector_typeIhLj4EELj4ELj16EEvPT_S3_
    .private_segment_fixed_size: 0
    .sgpr_count:     5
    .sgpr_spill_count: 0
    .symbol:         _Z18vector_test_kernelI15HIP_vector_typeIhLj4EELj4ELj16EEvPT_S3_.kd
    .uniform_work_group_size: 1
    .uses_dynamic_stack: false
    .vgpr_count:     2
    .vgpr_spill_count: 0
    .wavefront_size: 32
  - .args:
      - .address_space:  global
        .offset:         0
        .size:           8
        .value_kind:     global_buffer
      - .address_space:  global
        .offset:         8
        .size:           8
        .value_kind:     global_buffer
    .group_segment_fixed_size: 0
    .kernarg_segment_align: 8
    .kernarg_segment_size: 16
    .language:       OpenCL C
    .language_version:
      - 2
      - 0
    .max_flat_workgroup_size: 1024
    .name:           _Z18vector_test_kernelI15HIP_vector_typeIdLj4EELj4ELj16EEvPT_S3_
    .private_segment_fixed_size: 0
    .sgpr_count:     7
    .sgpr_spill_count: 0
    .symbol:         _Z18vector_test_kernelI15HIP_vector_typeIdLj4EELj4ELj16EEvPT_S3_.kd
    .uniform_work_group_size: 1
    .uses_dynamic_stack: false
    .vgpr_count:     12
    .vgpr_spill_count: 0
    .wavefront_size: 32
  - .args:
      - .address_space:  global
        .offset:         0
        .size:           8
        .value_kind:     global_buffer
      - .address_space:  global
        .offset:         8
        .size:           8
        .value_kind:     global_buffer
    .group_segment_fixed_size: 0
    .kernarg_segment_align: 8
    .kernarg_segment_size: 16
    .language:       OpenCL C
    .language_version:
      - 2
      - 0
    .max_flat_workgroup_size: 1024
    .name:           _Z18vector_test_kernelI15HIP_vector_typeIfLj4EELj4ELj16EEvPT_S3_
    .private_segment_fixed_size: 0
    .sgpr_count:     7
    .sgpr_spill_count: 0
    .symbol:         _Z18vector_test_kernelI15HIP_vector_typeIfLj4EELj4ELj16EEvPT_S3_.kd
    .uniform_work_group_size: 1
    .uses_dynamic_stack: false
    .vgpr_count:     5
    .vgpr_spill_count: 0
    .wavefront_size: 32
  - .args:
      - .address_space:  global
        .offset:         0
        .size:           8
        .value_kind:     global_buffer
      - .address_space:  global
        .offset:         8
        .size:           8
        .value_kind:     global_buffer
    .group_segment_fixed_size: 0
    .kernarg_segment_align: 8
    .kernarg_segment_size: 16
    .language:       OpenCL C
    .language_version:
      - 2
      - 0
    .max_flat_workgroup_size: 1024
    .name:           _Z18vector_test_kernelI15HIP_vector_typeIyLj4EELj4ELj16EEvPT_S3_
    .private_segment_fixed_size: 0
    .sgpr_count:     6
    .sgpr_spill_count: 0
    .symbol:         _Z18vector_test_kernelI15HIP_vector_typeIyLj4EELj4ELj16EEvPT_S3_.kd
    .uniform_work_group_size: 1
    .uses_dynamic_stack: false
    .vgpr_count:     6
    .vgpr_spill_count: 0
    .wavefront_size: 32
  - .args:
      - .address_space:  global
        .offset:         0
        .size:           8
        .value_kind:     global_buffer
      - .address_space:  global
        .offset:         8
        .size:           8
        .value_kind:     global_buffer
    .group_segment_fixed_size: 0
    .kernarg_segment_align: 8
    .kernarg_segment_size: 16
    .language:       OpenCL C
    .language_version:
      - 2
      - 0
    .max_flat_workgroup_size: 1024
    .name:           _Z18vector_test_kernelI15HIP_vector_typeIxLj4EELj4ELj16EEvPT_S3_
    .private_segment_fixed_size: 0
    .sgpr_count:     6
    .sgpr_spill_count: 0
    .symbol:         _Z18vector_test_kernelI15HIP_vector_typeIxLj4EELj4ELj16EEvPT_S3_.kd
    .uniform_work_group_size: 1
    .uses_dynamic_stack: false
    .vgpr_count:     6
    .vgpr_spill_count: 0
    .wavefront_size: 32
  - .args:
      - .address_space:  global
        .offset:         0
        .size:           8
        .value_kind:     global_buffer
      - .address_space:  global
        .offset:         8
        .size:           8
        .value_kind:     global_buffer
    .group_segment_fixed_size: 0
    .kernarg_segment_align: 8
    .kernarg_segment_size: 16
    .language:       OpenCL C
    .language_version:
      - 2
      - 0
    .max_flat_workgroup_size: 1024
    .name:           _Z18vector_test_kernelI15HIP_vector_typeImLj4EELj4ELj16EEvPT_S3_
    .private_segment_fixed_size: 0
    .sgpr_count:     6
    .sgpr_spill_count: 0
    .symbol:         _Z18vector_test_kernelI15HIP_vector_typeImLj4EELj4ELj16EEvPT_S3_.kd
    .uniform_work_group_size: 1
    .uses_dynamic_stack: false
    .vgpr_count:     6
    .vgpr_spill_count: 0
    .wavefront_size: 32
  - .args:
      - .address_space:  global
        .offset:         0
        .size:           8
        .value_kind:     global_buffer
      - .address_space:  global
        .offset:         8
        .size:           8
        .value_kind:     global_buffer
    .group_segment_fixed_size: 0
    .kernarg_segment_align: 8
    .kernarg_segment_size: 16
    .language:       OpenCL C
    .language_version:
      - 2
      - 0
    .max_flat_workgroup_size: 1024
    .name:           _Z18vector_test_kernelI15HIP_vector_typeIlLj4EELj4ELj16EEvPT_S3_
    .private_segment_fixed_size: 0
    .sgpr_count:     6
    .sgpr_spill_count: 0
    .symbol:         _Z18vector_test_kernelI15HIP_vector_typeIlLj4EELj4ELj16EEvPT_S3_.kd
    .uniform_work_group_size: 1
    .uses_dynamic_stack: false
    .vgpr_count:     6
    .vgpr_spill_count: 0
    .wavefront_size: 32
  - .args:
      - .address_space:  global
        .offset:         0
        .size:           8
        .value_kind:     global_buffer
      - .address_space:  global
        .offset:         8
        .size:           8
        .value_kind:     global_buffer
    .group_segment_fixed_size: 0
    .kernarg_segment_align: 8
    .kernarg_segment_size: 16
    .language:       OpenCL C
    .language_version:
      - 2
      - 0
    .max_flat_workgroup_size: 1024
    .name:           _Z18vector_test_kernelI15HIP_vector_typeIjLj4EELj4ELj16EEvPT_S3_
    .private_segment_fixed_size: 0
    .sgpr_count:     5
    .sgpr_spill_count: 0
    .symbol:         _Z18vector_test_kernelI15HIP_vector_typeIjLj4EELj4ELj16EEvPT_S3_.kd
    .uniform_work_group_size: 1
    .uses_dynamic_stack: false
    .vgpr_count:     6
    .vgpr_spill_count: 0
    .wavefront_size: 32
  - .args:
      - .address_space:  global
        .offset:         0
        .size:           8
        .value_kind:     global_buffer
      - .address_space:  global
        .offset:         8
        .size:           8
        .value_kind:     global_buffer
    .group_segment_fixed_size: 0
    .kernarg_segment_align: 8
    .kernarg_segment_size: 16
    .language:       OpenCL C
    .language_version:
      - 2
      - 0
    .max_flat_workgroup_size: 1024
    .name:           _Z18vector_test_kernelI15HIP_vector_typeIiLj4EELj4ELj16EEvPT_S3_
    .private_segment_fixed_size: 0
    .sgpr_count:     5
    .sgpr_spill_count: 0
    .symbol:         _Z18vector_test_kernelI15HIP_vector_typeIiLj4EELj4ELj16EEvPT_S3_.kd
    .uniform_work_group_size: 1
    .uses_dynamic_stack: false
    .vgpr_count:     6
    .vgpr_spill_count: 0
    .wavefront_size: 32
  - .args:
      - .address_space:  global
        .offset:         0
        .size:           8
        .value_kind:     global_buffer
      - .address_space:  global
        .offset:         8
        .size:           8
        .value_kind:     global_buffer
    .group_segment_fixed_size: 0
    .kernarg_segment_align: 8
    .kernarg_segment_size: 16
    .language:       OpenCL C
    .language_version:
      - 2
      - 0
    .max_flat_workgroup_size: 1024
    .name:           _Z18vector_test_kernelI15HIP_vector_typeItLj4EELj4ELj16EEvPT_S3_
    .private_segment_fixed_size: 0
    .sgpr_count:     5
    .sgpr_spill_count: 0
    .symbol:         _Z18vector_test_kernelI15HIP_vector_typeItLj4EELj4ELj16EEvPT_S3_.kd
    .uniform_work_group_size: 1
    .uses_dynamic_stack: false
    .vgpr_count:     4
    .vgpr_spill_count: 0
    .wavefront_size: 32
  - .args:
      - .address_space:  global
        .offset:         0
        .size:           8
        .value_kind:     global_buffer
      - .address_space:  global
        .offset:         8
        .size:           8
        .value_kind:     global_buffer
    .group_segment_fixed_size: 0
    .kernarg_segment_align: 8
    .kernarg_segment_size: 16
    .language:       OpenCL C
    .language_version:
      - 2
      - 0
    .max_flat_workgroup_size: 1024
    .name:           _Z18vector_test_kernelI15HIP_vector_typeIsLj4EELj4ELj16EEvPT_S3_
    .private_segment_fixed_size: 0
    .sgpr_count:     5
    .sgpr_spill_count: 0
    .symbol:         _Z18vector_test_kernelI15HIP_vector_typeIsLj4EELj4ELj16EEvPT_S3_.kd
    .uniform_work_group_size: 1
    .uses_dynamic_stack: false
    .vgpr_count:     4
    .vgpr_spill_count: 0
    .wavefront_size: 32
  - .args:
      - .address_space:  global
        .offset:         0
        .size:           8
        .value_kind:     global_buffer
      - .address_space:  global
        .offset:         8
        .size:           8
        .value_kind:     global_buffer
    .group_segment_fixed_size: 0
    .kernarg_segment_align: 8
    .kernarg_segment_size: 16
    .language:       OpenCL C
    .language_version:
      - 2
      - 0
    .max_flat_workgroup_size: 1024
    .name:           _Z18vector_test_kernelI15HIP_vector_typeIcLj4EELj4ELj16EEvPT_S3_
    .private_segment_fixed_size: 0
    .sgpr_count:     5
    .sgpr_spill_count: 0
    .symbol:         _Z18vector_test_kernelI15HIP_vector_typeIcLj4EELj4ELj16EEvPT_S3_.kd
    .uniform_work_group_size: 1
    .uses_dynamic_stack: false
    .vgpr_count:     2
    .vgpr_spill_count: 0
    .wavefront_size: 32
amdhsa.target:   amdgcn-amd-amdhsa--gfx1250
amdhsa.version:
  - 1
  - 2
...

	.end_amdgpu_metadata
